;; amdgpu-corpus repo=ROCm/aiter kind=harvested arch=n/a opt=n/a

/root/src/amdgpu-assembly/repos/ROCm__aiter/hsa/gfx950/fmha_v3_bwd/bwd_hd192_128_fp16_causal_br_a32_pssk.co:	file format elf64-amdgpu

Disassembly of section .text:

0000000000004000 <_ZN5aiter42fmha_bwd_hd192_128_fp16_causal_br_a32_psskE>:
	s_and_b32 s1, s1, 0xffff                                   // 000000004000: 8601FF01 0000FFFF
	s_load_dwordx2 s[32:33], s[0:1], 0x0                       // 000000004008: C0060800 00000000
	s_load_dwordx2 s[36:37], s[0:1], 0x10                      // 000000004010: C0060900 00000010
	s_load_dwordx2 s[40:41], s[0:1], 0x20                      // 000000004018: C0060A00 00000020
	s_load_dwordx2 s[8:9], s[0:1], 0x30                        // 000000004020: C0060200 00000030
	s_load_dwordx2 s[12:13], s[0:1], 0x40                      // 000000004028: C0060300 00000040
	s_load_dwordx2 s[16:17], s[0:1], 0x50                      // 000000004030: C0060400 00000050
	s_load_dwordx2 s[20:21], s[0:1], 0x60                      // 000000004038: C0060500 00000060
	s_load_dwordx2 s[24:25], s[0:1], 0x70                      // 000000004040: C0060600 00000070
	s_load_dwordx2 s[28:29], s[0:1], 0x80                      // 000000004048: C0060700 00000080
	s_load_dword s47, s[0:1], 0x90                             // 000000004050: C0020BC0 00000090
	s_load_dword s48, s[0:1], 0xa0                             // 000000004058: C0020C00 000000A0
	s_load_dword s49, s[0:1], 0xb0                             // 000000004060: C0020C40 000000B0
	s_load_dword s78, s[0:1], 0xd0                             // 000000004068: C0021380 000000D0
	s_load_dword s79, s[0:1], 0xe0                             // 000000004070: C00213C0 000000E0
	s_load_dword s5, s[0:1], 0xf0                              // 000000004078: C0020140 000000F0
	s_load_dword s44, s[0:1], 0x100                            // 000000004080: C0020B00 00000100
	s_load_dword s80, s[0:1], 0x110                            // 000000004088: C0021400 00000110
	s_load_dword s81, s[0:1], 0x120                            // 000000004090: C0021440 00000120
	s_load_dword s6, s[0:1], 0x130                             // 000000004098: C0020180 00000130
	s_load_dword s52, s[0:1], 0x140                            // 0000000040A0: C0020D00 00000140
	s_load_dword s50, s[0:1], 0x150                            // 0000000040A8: C0020C80 00000150
	s_load_dword s63, s[0:1], 0x160                            // 0000000040B0: C0020FC0 00000160
	s_load_dword s64, s[0:1], 0x180                            // 0000000040B8: C0021000 00000180
	s_load_dword s82, s[0:1], 0x190                            // 0000000040C0: C0021480 00000190
	s_load_dword s83, s[0:1], 0x1a0                            // 0000000040C8: C00214C0 000001A0
	s_load_dword s7, s[0:1], 0x1b0                             // 0000000040D0: C00201C0 000001B0
	s_load_dword s84, s[0:1], 0x1c0                            // 0000000040D8: C0021500 000001C0
	s_load_dword s85, s[0:1], 0x1d0                            // 0000000040E0: C0021540 000001D0
	s_load_dword s51, s[0:1], 0x1e0                            // 0000000040E8: C0020CC0 000001E0
	s_load_dword s86, s[0:1], 0x1f0                            // 0000000040F0: C0021580 000001F0
	s_load_dword s87, s[0:1], 0x200                            // 0000000040F8: C00215C0 00000200
	s_load_dword s88, s[0:1], 0x210                            // 000000004100: C0021600 00000210
	s_load_dword s89, s[0:1], 0x220                            // 000000004108: C0021640 00000220
	s_load_dword s53, s[0:1], 0x230                            // 000000004110: C0020D40 00000230
	v_lshrrev_b32_e32 v1, 10, v0                               // 000000004118: 2002008A
	v_lshrrev_b32_e32 v2, 10, v1                               // 00000000411C: 2004028A
	v_and_b32_e32 v2, 0x3ff, v2                                // 000000004120: 260404FF 000003FF
	v_and_b32_e32 v1, 0x3ff, v1                                // 000000004128: 260202FF 000003FF
	v_and_b32_e32 v0, 0x3ff, v0                                // 000000004130: 260000FF 000003FF
	v_lshrrev_b32_e32 v3, 6, v0                                // 000000004138: 20060086
	v_and_b32_e32 v0, 63, v0                                   // 00000000413C: 260000BF
	s_mov_b32 s2, s2                                           // 000000004140: BE820002
	s_mov_b32 s3, s3                                           // 000000004144: BE830003
	s_mov_b32 s4, s4                                           // 000000004148: BE840004
	v_readfirstlane_b32 s46, v3                                // 00000000414C: 7E5C0503
	s_waitcnt lgkmcnt(0)                                       // 000000004150: BF8CC07F
	s_mov_b32 s11, 0x20000                                     // 000000004154: BE8B00FF 00020000
	s_mov_b32 s15, 0x20000                                     // 00000000415C: BE8F00FF 00020000
	s_mov_b32 s19, 0x20000                                     // 000000004164: BE9300FF 00020000
	s_mov_b32 s23, 0x20000                                     // 00000000416C: BE9700FF 00020000
	s_mov_b32 s27, 0x20000                                     // 000000004174: BE9B00FF 00020000
	s_mov_b32 s31, 0x20000                                     // 00000000417C: BE9F00FF 00020000
	s_mov_b32 s35, 0x20000                                     // 000000004184: BEA300FF 00020000
	s_mov_b32 s39, 0x20000                                     // 00000000418C: BEA700FF 00020000
	s_mov_b32 s43, 0x20000                                     // 000000004194: BEAB00FF 00020000
	s_and_b32 s9, s9, 0xffff                                   // 00000000419C: 8609FF09 0000FFFF
	s_and_b32 s13, s13, 0xffff                                 // 0000000041A4: 860DFF0D 0000FFFF
	s_and_b32 s17, s17, 0xffff                                 // 0000000041AC: 8611FF11 0000FFFF
	s_and_b32 s21, s21, 0xffff                                 // 0000000041B4: 8615FF15 0000FFFF
	s_and_b32 s25, s25, 0xffff                                 // 0000000041BC: 8619FF19 0000FFFF
	s_and_b32 s29, s29, 0xffff                                 // 0000000041C4: 861DFF1D 0000FFFF
	s_and_b32 s33, s33, 0xffff                                 // 0000000041CC: 8621FF21 0000FFFF
	s_and_b32 s37, s37, 0xffff                                 // 0000000041D4: 8625FF25 0000FFFF
	s_and_b32 s41, s41, 0xffff                                 // 0000000041DC: 8629FF29 0000FFFF
	s_or_b32 s9, s9, 0x40000                                   // 0000000041E4: 8709FF09 00040000
	s_or_b32 s13, s13, 0x40000                                 // 0000000041EC: 870DFF0D 00040000
	s_or_b32 s17, s17, 0x40000                                 // 0000000041F4: 8711FF11 00040000
	s_or_b32 s21, s21, 0x40000                                 // 0000000041FC: 8715FF15 00040000
	s_or_b32 s25, s25, 0x40000                                 // 000000004204: 8719FF19 00040000
	s_or_b32 s29, s29, 0x40000                                 // 00000000420C: 871DFF1D 00040000
	s_or_b32 s33, s33, 0x40000                                 // 000000004214: 8721FF21 00040000
	s_or_b32 s37, s37, 0x40000                                 // 00000000421C: 8725FF25 00040000
	s_or_b32 s41, s41, 0x40000                                 // 000000004224: 8729FF29 00040000
	v_accvgpr_write_b32 a255, 0                                // 00000000422C: D3D940FF 18000080
	v_mov_b32_e32 v255, 0                                      // 000000004234: 7FFE0280
	s_mov_b32 s71, s3                                          // 000000004238: BEC70003
	v_cvt_f32_u32_e32 v32, s44                                 // 00000000423C: 7E400C2C
	s_sub_i32 s60, 0, s44                                      // 000000004240: 81BC2C80
	v_rcp_iflag_f32_e32 v32, v32                               // 000000004244: 7E404720
	s_nop 0                                                    // 000000004248: BF800000
	v_mul_f32_e32 v32, 0x4f7ffffe, v32                         // 00000000424C: 0A4040FF 4F7FFFFE
	v_cvt_u32_f32_e32 v32, v32                                 // 000000004254: 7E400F20
	v_mul_lo_u32 v33, s60, v32                                 // 000000004258: D2850021 0002403C
	v_mul_hi_u32 v33, v32, v33                                 // 000000004260: D2860021 00024320
	v_add_u32_e32 v32, v32, v33                                // 000000004268: 68404320
	v_mul_hi_u32 v32, s71, v32                                 // 00000000426C: D2860020 00024047
	v_mul_lo_u32 v33, v32, s44                                 // 000000004274: D2850021 00005920
	v_sub_u32_e32 v35, s71, v33                                // 00000000427C: 6A464247
	v_add_u32_e32 v34, 1, v32                                  // 000000004280: 68444081
	v_cmp_le_u32_e32 vcc, s44, v35                             // 000000004284: 7D96462C
	v_subrev_u32_e32 v33, s44, v35                             // 000000004288: 6C42462C
	s_nop 0                                                    // 00000000428C: BF800000
	v_cndmask_b32_e32 v32, v32, v34, vcc                       // 000000004290: 00404520
	v_cndmask_b32_e32 v35, v35, v33, vcc                       // 000000004294: 00464323
	v_add_u32_e32 v33, 1, v32                                  // 000000004298: 68424081
	v_cmp_le_u32_e32 vcc, s44, v35                             // 00000000429C: 7D96462C
	s_nop 1                                                    // 0000000042A0: BF800001
	v_cndmask_b32_e32 v35, v32, v33, vcc                       // 0000000042A4: 00464320
	s_nop 3                                                    // 0000000042A8: BF800003
	v_readfirstlane_b32 s45, v35                               // 0000000042AC: 7E5A0523
	s_nop 3                                                    // 0000000042B0: BF800003
	s_mul_i32 s61, s45, s80                                    // 0000000042B4: 923D502D
	s_add_u32 s12, s61, s12                                    // 0000000042B8: 800C0C3D
	s_addc_u32 s13, 0, s13                                     // 0000000042BC: 820D0D80
	s_mul_i32 s60, s4, s81                                     // 0000000042C0: 923C5104
	s_mul_hi_u32 s61, s4, s81                                  // 0000000042C4: 963D5104
	s_and_b32 s61, s61, 0xffff                                 // 0000000042C8: 863DFF3D 0000FFFF
	s_add_u32 s12, s12, s60                                    // 0000000042D0: 800C3C0C
	s_addc_u32 s13, s13, s61                                   // 0000000042D4: 820D3D0D
	s_mul_i32 s61, s45, s82                                    // 0000000042D8: 923D522D
	s_add_u32 s16, s61, s16                                    // 0000000042DC: 8010103D
	s_addc_u32 s17, 0, s17                                     // 0000000042E0: 82111180
	s_mul_i32 s60, s4, s83                                     // 0000000042E4: 923C5304
	s_mul_hi_u32 s61, s4, s83                                  // 0000000042E8: 963D5304
	s_and_b32 s61, s61, 0xffff                                 // 0000000042EC: 863DFF3D 0000FFFF
	s_add_u32 s16, s16, s60                                    // 0000000042F4: 80103C10
	s_addc_u32 s17, s17, s61                                   // 0000000042F8: 82113D11
	s_mul_i32 s61, s3, s78                                     // 0000000042FC: 923D4E03
	s_mul_i32 s62, s4, s79                                     // 000000004300: 923E4F04
	s_mov_b32 s55, s61                                         // 000000004304: BEB7003D
	s_add_u32 s8, s55, s8                                      // 000000004308: 80080837
	s_addc_u32 s9, 0, s9                                       // 00000000430C: 82090980
	s_mul_i32 s60, s5, s49                                     // 000000004310: 923C3105
	s_sub_i32 s61, s60, s61                                    // 000000004314: 81BD3D3C
	s_cmp_ge_i32 s5, s78                                       // 000000004318: BF034E05
	s_cselect_b32 s60, s61, s60                                // 00000000431C: 853C3C3D
	s_sub_i32 s61, s60, s62                                    // 000000004320: 81BD3E3C
	s_cmp_ge_i32 s5, s79                                       // 000000004324: BF034F05
	s_cselect_b32 s60, s61, s60                                // 000000004328: 853C3C3D
	s_lshr_b32 s60, s60, 2                                     // 00000000432C: 8F3C823C
	s_mov_b32 s10, s60                                         // 000000004330: BE8A003C
	s_mul_hi_u32 s60, s4, s79                                  // 000000004334: 963C4F04
	s_and_b32 s60, s60, 0xffff                                 // 000000004338: 863CFF3C 0000FFFF
	s_add_u32 s8, s8, s62                                      // 000000004340: 80083E08
	s_addc_u32 s9, s9, s60                                     // 000000004344: 82093C09
	s_mul_i32 s61, s3, s84                                     // 000000004348: 923D5403
	s_mul_i32 s62, s4, s85                                     // 00000000434C: 923E5504
	s_mov_b32 s56, s61                                         // 000000004350: BEB8003D
	s_add_u32 s20, s56, s20                                    // 000000004354: 80141438
	s_addc_u32 s21, 0, s21                                     // 000000004358: 82151580
	s_mul_i32 s60, s51, s49                                    // 00000000435C: 923C3133
	s_sub_i32 s61, s60, s61                                    // 000000004360: 81BD3D3C
	s_cmp_ge_i32 s51, s84                                      // 000000004364: BF035433
	s_cselect_b32 s60, s61, s60                                // 000000004368: 853C3C3D
	s_sub_i32 s61, s60, s62                                    // 00000000436C: 81BD3E3C
	s_cmp_ge_i32 s51, s85                                      // 000000004370: BF035533
	s_cselect_b32 s60, s61, s60                                // 000000004374: 853C3C3D
	s_lshr_b32 s60, s60, 2                                     // 000000004378: 8F3C823C
	s_mov_b32 s22, s60                                         // 00000000437C: BE96003C
	s_mul_hi_u32 s60, s4, s85                                  // 000000004380: 963C5504
	s_and_b32 s60, s60, 0xffff                                 // 000000004384: 863CFF3C 0000FFFF
	s_add_u32 s20, s20, s62                                    // 00000000438C: 80143E14
	s_addc_u32 s21, s21, s60                                   // 000000004390: 82153C15
	s_mul_i32 s62, s64, s49                                    // 000000004394: 923E3140
	s_lshl_b32 s62, s62, 2                                     // 000000004398: 8E3E823E
	s_mul_i32 s61, s3, s49                                     // 00000000439C: 923D3103
	s_mul_i32 s61, 4, s61                                      // 0000000043A0: 923D3D84
	s_mul_i32 s60, s4, s62                                     // 0000000043A4: 923C3E04
	s_mul_hi_u32 s62, s4, s62                                  // 0000000043A8: 963E3E04
	s_add_u32 s65, s61, s60                                    // 0000000043AC: 80413C3D
	s_addc_u32 s62, s62, 0                                     // 0000000043B0: 823E803E
	s_mov_b32 s26, s49                                         // 0000000043B4: BE9A0031
	s_mov_b32 s30, s49                                         // 0000000043B8: BE9E0031
	s_and_b32 s62, s62, 0xffff                                 // 0000000043BC: 863EFF3E 0000FFFF
	s_add_u32 s24, s65, s24                                    // 0000000043C4: 80181841
	s_addc_u32 s25, s62, s25                                   // 0000000043C8: 8219193E
	s_add_u32 s28, s65, s28                                    // 0000000043CC: 801C1C41
	s_addc_u32 s29, s62, s29                                   // 0000000043D0: 821D1D3E
	s_mul_i32 s61, s3, s86                                     // 0000000043D4: 923D5603
	s_add_u32 s36, s61, s36                                    // 0000000043D8: 8024243D
	s_addc_u32 s37, 0, s37                                     // 0000000043DC: 82252580
	s_mul_i32 s60, s50, s52                                    // 0000000043E0: 923C3432
	s_mov_b32 s38, s60                                         // 0000000043E4: BEA6003C
	s_mul_i32 s60, s4, s87                                     // 0000000043E8: 923C5704
	s_mul_hi_u32 s61, s4, s87                                  // 0000000043EC: 963D5704
	s_and_b32 s61, s61, 0xffff                                 // 0000000043F0: 863DFF3D 0000FFFF
	s_add_u32 s36, s36, s60                                    // 0000000043F8: 80243C24
	s_addc_u32 s37, s37, s61                                   // 0000000043FC: 82253D25
	s_mul_i32 s61, s3, s88                                     // 000000004400: 923D5803
	s_add_u32 s40, s61, s40                                    // 000000004404: 8028283D
	s_addc_u32 s41, 0, s41                                     // 000000004408: 82292980
	s_mul_i32 s60, s50, s53                                    // 00000000440C: 923C3532
	s_mov_b32 s42, s60                                         // 000000004410: BEAA003C
	s_mul_i32 s60, s4, s89                                     // 000000004414: 923C5904
	s_mul_hi_u32 s61, s4, s89                                  // 000000004418: 963D5904
	s_and_b32 s61, s61, 0xffff                                 // 00000000441C: 863DFF3D 0000FFFF
	s_add_u32 s40, s40, s60                                    // 000000004424: 80283C28
	s_addc_u32 s41, s41, s61                                   // 000000004428: 82293D29
	s_mul_i32 s60, s63, s65                                    // 00000000442C: 923C413F
	s_mul_hi_u32 s61, s63, s65                                 // 000000004430: 963D413F
	s_and_b32 s61, s61, 0xffff                                 // 000000004434: 863DFF3D 0000FFFF
	s_add_u32 s32, s60, s32                                    // 00000000443C: 8020203C
	s_addc_u32 s33, s61, s33                                   // 000000004440: 8221213D
	s_mul_i32 s60, s63, s49                                    // 000000004444: 923C313F
	s_lshl_b32 s60, s60, 2                                     // 000000004448: 8E3C823C
	s_mov_b32 s34, s60                                         // 00000000444C: BEA2003C
	s_mov_b32 s92, s8                                          // 000000004450: BEDC0008
	s_mov_b32 s94, s12                                         // 000000004454: BEDE000C
	s_mov_b32 s96, s16                                         // 000000004458: BEE00010
	s_mov_b32 s90, s20                                         // 00000000445C: BEDA0014
	s_mov_b32 s93, s9                                          // 000000004460: BEDD0009
	s_mov_b32 s95, s13                                         // 000000004464: BEDF000D
	s_mov_b32 s97, s17                                         // 000000004468: BEE10011
	s_mov_b32 s91, s21                                         // 00000000446C: BEDB0015
	s_add_u32 s71, 0xbf, s50                                   // 000000004470: 804732FF 000000BF
	s_mov_b32 s74, 0xc0                                        // 000000004478: BECA00FF 000000C0
	v_cvt_f32_u32_e32 v32, s74                                 // 000000004480: 7E400C4A
	s_sub_i32 s60, 0, s74                                      // 000000004484: 81BC4A80
	v_rcp_iflag_f32_e32 v32, v32                               // 000000004488: 7E404720
	s_nop 0                                                    // 00000000448C: BF800000
	v_mul_f32_e32 v32, 0x4f7ffffe, v32                         // 000000004490: 0A4040FF 4F7FFFFE
	v_cvt_u32_f32_e32 v32, v32                                 // 000000004498: 7E400F20
	v_mul_lo_u32 v33, s60, v32                                 // 00000000449C: D2850021 0002403C
	v_mul_hi_u32 v33, v32, v33                                 // 0000000044A4: D2860021 00024320
	v_add_u32_e32 v32, v32, v33                                // 0000000044AC: 68404320
	v_mul_hi_u32 v32, s71, v32                                 // 0000000044B0: D2860020 00024047
	v_mul_lo_u32 v33, v32, s74                                 // 0000000044B8: D2850021 00009520
	v_sub_u32_e32 v35, s71, v33                                // 0000000044C0: 6A464247
	v_add_u32_e32 v34, 1, v32                                  // 0000000044C4: 68444081
	v_cmp_le_u32_e32 vcc, s74, v35                             // 0000000044C8: 7D96464A
	v_subrev_u32_e32 v33, s74, v35                             // 0000000044CC: 6C42464A
	s_nop 0                                                    // 0000000044D0: BF800000
	v_cndmask_b32_e32 v32, v32, v34, vcc                       // 0000000044D4: 00404520
	v_cndmask_b32_e32 v35, v35, v33, vcc                       // 0000000044D8: 00464323
	v_add_u32_e32 v33, 1, v32                                  // 0000000044DC: 68424081
	v_cmp_le_u32_e32 vcc, s74, v35                             // 0000000044E0: 7D96464A
	s_nop 1                                                    // 0000000044E4: BF800001
	v_cndmask_b32_e32 v35, v32, v33, vcc                       // 0000000044E8: 00464320
	s_nop 3                                                    // 0000000044EC: BF800003
	v_readfirstlane_b32 s77, v35                               // 0000000044F0: 7E9A0523
	s_nop 3                                                    // 0000000044F4: BF800003
	v_mov_b32_e32 v32, s47                                     // 0000000044F8: 7E40022F
	v_mul_f32_e32 v32, s48, v32                                // 0000000044FC: 0A404030
	s_mov_b32 s58, s49                                         // 000000004500: BEBA0031
	s_mov_b32 s59, 0                                           // 000000004504: BEBB0080
	v_readfirstlane_b32 s57, v32                               // 000000004508: 7E720520
	s_mul_i32 s60, s63, 64                                     // 00000000450C: 923CC03F
	s_mov_b32 s67, s60                                         // 000000004510: BEC3003C
	s_cmp_lt_u32 s46, 2                                        // 000000004514: BF0A822E
	s_cselect_b32 s24, s24, s28                                // 000000004518: 85181C18
	s_cselect_b32 s25, s25, s29                                // 00000000451C: 85191D19
	s_cselect_b32 s26, s26, s30                                // 000000004520: 851A1E1A
	s_cselect_b32 s27, s27, s31                                // 000000004524: 851B1F1B
	s_mov_b32 s75, 0                                           // 000000004528: BECB0080
	s_mov_b32 s76, 1                                           // 00000000452C: BECC0081
	s_lshl_b32 s60, s2, 1                                      // 000000004530: 8E3C8102
	s_add_u32 s60, 1, s60                                      // 000000004534: 803C3C81
	s_cmp_ge_i32 s60, s77                                      // 000000004538: BF034D3C
	s_cselect_b32 s76, s76, 2                                  // 00000000453C: 854C824C

0000000000004540 <label_0150>:
	s_mov_b32 s66, 0                                           // 000000004540: BEC20080
	v_mov_b32_e32 v127, 0xff800000                             // 000000004544: 7EFE02FF FF800000
	s_mov_b32 s74, 0                                           // 00000000454C: BECA0080
	s_mul_i32 s68, 4, s5                                       // 000000004550: 92440584
	s_mul_i32 s98, 4, s51                                      // 000000004554: 92623384
	s_mov_b32 s69, 16                                          // 000000004558: BEC50090
	s_mul_i32 s74, 0xc0, s2                                    // 00000000455C: 924A02FF 000000C0
	s_sub_i32 s60, s50, s49                                    // 000000004564: 81BC3132
	s_sub_i32 s71, s74, s60                                    // 000000004568: 81C73C4A
	s_cmp_ge_i32 s71, 0                                        // 00000000456C: BF038047
	s_cselect_b32 s59, s71, 0                                  // 000000004570: 853B8047
	s_add_i32 s60, s71, 0xc0                                   // 000000004574: 813CFF47 000000C0
	s_cmp_le_i32 s60, 0                                        // 00000000457C: BF05803C
	s_cbranch_scc0 label_0163                                  // 000000004580: BF840002
	s_mov_b32 s90, 0                                           // 000000004584: BEDA0080
	s_branch label_016F                                        // 000000004588: BF82000C

000000000000458c <label_0163>:
	s_mov_b32 s90, 1                                           // 00000000458C: BEDA0081
	s_sub_i32 s60, s59, s71                                    // 000000004590: 81BC473B
	v_lshrrev_b32_e32 v32, 4, v0                               // 000000004594: 20400084
	v_mul_i32_i24_e32 v32, 4, v32                              // 000000004598: 0C404084
	v_add_i32 v32, v32, s60                                    // 00000000459C: D29C0020 00007920
	v_and_b32_e32 v33, 15, v0                                  // 0000000045A4: 2642008F
	v_mul_i32_i24_e64 v34, s46, 16                             // 0000000045A8: D1060022 0001202E
	v_add_u32_e32 v33, v33, v34                                // 0000000045B0: 68424521
	v_sub_i32 v24, v33, v32                                    // 0000000045B4: D29D0018 00024121

00000000000045bc <label_016F>:
	s_mul_i32 s74, 0xc0, s2                                    // 0000000045BC: 924A02FF 000000C0
	s_mul_i32 s54, s6, s74                                     // 0000000045C4: 92364A06
	s_sub_i32 s61, s50, s74                                    // 0000000045C8: 81BD4A32
	s_mul_i32 s62, s6, s61                                     // 0000000045CC: 923E3D06
	s_lshr_b32 s62, s62, 2                                     // 0000000045D0: 8F3E823E
	s_mov_b32 s14, s62                                         // 0000000045D4: BE8E003E
	s_add_u32 s12, s54, s94                                    // 0000000045D8: 800C5E36
	s_addc_u32 s13, 0, s95                                     // 0000000045DC: 820D5F80
	s_mul_i32 s54, s7, s74                                     // 0000000045E0: 92364A07
	s_mul_i32 s62, s7, s61                                     // 0000000045E4: 923E3D07
	s_lshr_b32 s62, s62, 2                                     // 0000000045E8: 8F3E823E
	s_mov_b32 s18, s62                                         // 0000000045EC: BE92003E
	s_add_u32 s16, s54, s96                                    // 0000000045F0: 80106036
	s_addc_u32 s17, 0, s97                                     // 0000000045F4: 82116180
	s_mov_b32 s71, s6                                          // 0000000045F8: BEC70006
	v_and_b32_e32 v32, 3, v0                                   // 0000000045FC: 26400083
	v_and_b32_e32 v33, 1, v32                                  // 000000004600: 26424081
	v_lshrrev_b32_e32 v34, 1, v32                              // 000000004604: 20444081
	v_lshrrev_b32_e32 v32, 5, v0                               // 000000004608: 20400085
	v_xor_b32_e32 v34, v34, v32                                // 00000000460C: 2A444122
	v_lshlrev_b32_e32 v34, 1, v34                              // 000000004610: 24444481
	v_add_u32_e32 v33, v34, v33                                // 000000004614: 68424322
	v_lshlrev_b32_e32 v33, 4, v33                              // 000000004618: 24424284
	v_lshrrev_b32_e32 v32, 2, v0                               // 00000000461C: 20400082
	v_mul_i32_i24_e32 v32, s71, v32                            // 000000004620: 0C404047
	v_add_u32_e32 v1, v32, v33                                 // 000000004624: 68024320
	s_mul_i32 s60, s46, 64                                     // 000000004628: 923CC02E
	v_add_u32_e32 v1, s60, v1                                  // 00000000462C: 6802023C
	v_and_b32_e32 v32, 7, v0                                   // 000000004630: 26400087
	v_lshrrev_b32_e32 v33, 3, v0                               // 000000004634: 20420083
	v_and_b32_e32 v33, 1, v33                                  // 000000004638: 26424281
	s_lshr_b32 s60, s46, 1                                     // 00000000463C: 8F3C812E
	v_xor_b32_e64 v33, v33, s60                                // 000000004640: D1150021 00007921
	v_lshlrev_b32_e32 v33, 3, v33                              // 000000004648: 24424283
	v_add_u32_e32 v32, v32, v33                                // 00000000464C: 68404320
	v_lshlrev_b32_e32 v32, 2, v32                              // 000000004650: 24404082
	s_mul_i32 s60, s46, 4                                      // 000000004654: 923C842E
	v_lshrrev_b32_e32 v33, 4, v0                               // 000000004658: 20420084
	v_add_u32_e64 v33, v33, s60                                // 00000000465C: D1340021 00007921
	v_mul_i32_i24_e32 v33, s71, v33                            // 000000004664: 0C424247
	v_add_u32_e32 v2, v32, v33                                 // 000000004668: 68044320
	s_mov_b32 s60, 0x100                                       // 00000000466C: BEBC00FF 00000100
	v_add_u32_e64 v2, v2, s60                                  // 000000004674: D1340002 00007902
	v_add_u32_e64 v3, v2, 64                                   // 00000000467C: D1340003 00018102
	s_mov_b32 s71, s7                                          // 000000004684: BEC70007
	v_and_b32_e32 v32, 3, v0                                   // 000000004688: 26400083
	v_and_b32_e32 v33, 1, v32                                  // 00000000468C: 26424081
	v_lshrrev_b32_e32 v34, 1, v32                              // 000000004690: 20444081
	v_lshrrev_b32_e32 v32, 5, v0                               // 000000004694: 20400085
	v_xor_b32_e32 v34, v34, v32                                // 000000004698: 2A444122
	v_lshlrev_b32_e32 v34, 1, v34                              // 00000000469C: 24444481
	v_add_u32_e32 v33, v34, v33                                // 0000000046A0: 68424322
	v_lshlrev_b32_e32 v33, 4, v33                              // 0000000046A4: 24424284
	v_lshrrev_b32_e32 v32, 2, v0                               // 0000000046A8: 20400082
	v_mul_i32_i24_e32 v32, s71, v32                            // 0000000046AC: 0C404047
	v_add_u32_e32 v4, v32, v33                                 // 0000000046B0: 68084320
	s_mul_i32 s60, s46, 64                                     // 0000000046B4: 923CC02E
	v_add_u32_e32 v4, s60, v4                                  // 0000000046B8: 6808083C
	v_lshrrev_b32_e32 v1, 2, v1                                // 0000000046BC: 20020282
	v_lshrrev_b32_e32 v2, 2, v2                                // 0000000046C0: 20040482
	v_lshrrev_b32_e32 v3, 2, v3                                // 0000000046C4: 20060682
	v_lshrrev_b32_e32 v4, 2, v4                                // 0000000046C8: 20080882
	s_mov_b32 s70, s52                                         // 0000000046CC: BEC60034
	v_lshrrev_b32_e32 v32, 3, v0                               // 0000000046D0: 20400083
	v_mul_i32_i24_e32 v5, s70, v32                             // 0000000046D4: 0C0A4046
	v_lshrrev_b32_e32 v5, 2, v5                                // 0000000046D8: 200A0A82
	v_and_b32_e32 v32, 7, v0                                   // 0000000046DC: 26400087
	v_lshlrev_b32_e32 v33, 2, v32                              // 0000000046E0: 24424082
	v_add_u32_e32 v5, v33, v5                                  // 0000000046E4: 680A0B21
	s_mul_i32 s60, 16, s70                                     // 0000000046E8: 923C4690
	s_mul_i32 s60, s46, s60                                    // 0000000046EC: 923C3C2E
	v_lshlrev_b32_e32 v5, 2, v5                                // 0000000046F0: 240A0A82
	v_add_u32_e32 v5, s60, v5                                  // 0000000046F4: 680A0A3C
	s_mul_i32 s60, s52, s74                                    // 0000000046F8: 923C4A34
	v_add_u32_e32 v5, s60, v5                                  // 0000000046FC: 680A0A3C
	s_mov_b32 s70, s53                                         // 000000004700: BEC60035
	v_lshrrev_b32_e32 v32, 3, v0                               // 000000004704: 20400083
	v_mul_i32_i24_e32 v6, s70, v32                             // 000000004708: 0C0C4046
	v_lshrrev_b32_e32 v6, 2, v6                                // 00000000470C: 200C0C82
	v_and_b32_e32 v32, 7, v0                                   // 000000004710: 26400087
	v_lshlrev_b32_e32 v33, 2, v32                              // 000000004714: 24424082
	v_add_u32_e32 v6, v33, v6                                  // 000000004718: 680C0D21
	s_mul_i32 s60, 16, s70                                     // 00000000471C: 923C4690
	s_mul_i32 s60, s46, s60                                    // 000000004720: 923C3C2E
	v_lshlrev_b32_e32 v6, 2, v6                                // 000000004724: 240C0C82
	v_add_u32_e32 v6, s60, v6                                  // 000000004728: 680C0C3C
	s_mul_i32 s60, s53, s74                                    // 00000000472C: 923C4A35
	v_add_u32_e32 v6, s60, v6                                  // 000000004730: 680C0C3C
	s_mov_b32 s74, 0                                           // 000000004734: BECA0080
	s_cmp_ge_i32 s59, s49                                      // 000000004738: BF03313B
	s_cselect_b32 s59, s49, s59                                // 00000000473C: 853B3B31
	s_add_u32 s73, 16, s59                                     // 000000004740: 80493B90
	s_mul_i32 s65, s59, 4                                      // 000000004744: 9241843B
	v_and_b32_e32 v11, 15, v0                                  // 000000004748: 2616008F
	v_lshlrev_b32_e32 v11, 2, v11                              // 00000000474C: 24161682
	v_add_u32_e32 v11, s65, v11                                // 000000004750: 68161641
	v_lshrrev_b32_e32 v11, 2, v11                              // 000000004754: 20161682
	v_lshrrev_b32_e32 v32, 4, v0                               // 000000004758: 20400084
	v_mul_i32_i24_e64 v33, s63, 4                              // 00000000475C: D1060021 0001083F
	v_mul_i32_i24_e32 v7, v33, v32                             // 000000004764: 0C0E4121
	v_and_b32_e32 v32, 15, v0                                  // 000000004768: 2640008F
	v_add_u32_e32 v7, v32, v7                                  // 00000000476C: 680E0F20
	s_mul_i32 s60, s46, 48                                     // 000000004770: 923CB02E
	v_add_u32_e32 v7, s60, v7                                  // 000000004774: 680E0E3C
	v_lshlrev_b32_e32 v7, 2, v7                                // 000000004778: 240E0E82
	s_mul_i32 s60, s63, 4                                      // 00000000477C: 923C843F
	v_add_u32_e32 v8, s60, v7                                  // 000000004780: 68100E3C
	v_add_u32_e32 v9, s60, v8                                  // 000000004784: 6812103C
	v_add_u32_e32 v10, s60, v9                                 // 000000004788: 6814123C
	s_mul_i32 s60, s63, s65                                    // 00000000478C: 923C413F
	v_add_u32_e32 v7, s60, v7                                  // 000000004790: 680E0E3C
	v_add_u32_e32 v8, s60, v8                                  // 000000004794: 6810103C
	v_add_u32_e32 v9, s60, v9                                  // 000000004798: 6812123C
	v_add_u32_e32 v10, s60, v10                                // 00000000479C: 6814143C
	s_mul_i32 s60, 3, s2                                       // 0000000047A0: 923C0283
	s_add_u32 s61, s50, 63                                     // 0000000047A4: 803DBF32
	s_lshr_b32 s61, s61, 6                                     // 0000000047A8: 8F3D863D
	s_sub_i32 s72, s61, s60                                    // 0000000047AC: 81C83C3D
	s_cmp_lt_i32 s72, 3                                        // 0000000047B0: BF048348
	s_cselect_b32 s72, s72, 3                                  // 0000000047B4: 85488348
	s_mul_i32 s60, 0xc0, s2                                    // 0000000047B8: 923C02FF 000000C0
	s_sub_i32 s64, s50, s60                                    // 0000000047C0: 81C03C32
	v_lshrrev_b32_e32 v32, 4, v0                               // 0000000047C4: 20400084
	v_and_b32_e32 v33, 1, v32                                  // 0000000047C8: 26424081
	v_lshrrev_b32_e32 v34, 1, v32                              // 0000000047CC: 20444081
	v_and_b32_e32 v32, 15, v0                                  // 0000000047D0: 2640008F
	v_lshlrev_b32_e32 v12, 4, v32                              // 0000000047D4: 24184084
	v_lshrrev_b32_e32 v32, 3, v32                              // 0000000047D8: 20404083
	v_xor_b32_e32 v32, v32, v34                                // 0000000047DC: 2A404520
	v_lshlrev_b32_e32 v32, 1, v32                              // 0000000047E0: 24404081
	v_add_u32_e32 v32, v33, v32                                // 0000000047E4: 68404121
	v_lshlrev_b32_e32 v32, 2, v32                              // 0000000047E8: 24404082
	v_add_u32_e32 v12, v32, v12                                // 0000000047EC: 68181920
	v_lshlrev_b32_e32 v12, 2, v12                              // 0000000047F0: 24181882
	s_mul_i32 s60, s46, 0x1800                                 // 0000000047F4: 923CFF2E 00001800
	v_add_u32_e32 v17, s60, v12                                // 0000000047FC: 6822183C
	s_mul_i32 s60, s46, 0x1000                                 // 000000004800: 923CFF2E 00001000
	v_add_u32_e32 v18, s60, v12                                // 000000004808: 6824183C
	v_and_b32_e32 v32, 15, v0                                  // 00000000480C: 2640008F
	v_and_b32_e32 v33, 3, v32                                  // 000000004810: 26424083
	v_lshrrev_b32_e32 v34, 2, v32                              // 000000004814: 20444082
	v_lshlrev_b32_e32 v33, 1, v33                              // 000000004818: 24424281
	v_lshlrev_b32_e32 v34, 4, v34                              // 00000000481C: 24444484
	v_add_u32_e32 v13, v33, v34                                // 000000004820: 681A4521
	v_lshrrev_b32_e32 v32, 5, v0                               // 000000004824: 20400085
	v_mul_i32_i24_e32 v33, 0x600, v32                          // 000000004828: 0C4240FF 00000600
	v_mul_i32_i24_e32 v34, 0x80, v32                           // 000000004830: 0C4440FF 00000080
	v_add_u32_e32 v19, v33, v13                                // 000000004838: 68261B21
	v_add_u32_e32 v13, v34, v13                                // 00000000483C: 681A1B22
	v_lshrrev_b32_e32 v33, 4, v0                               // 000000004840: 20420084
	v_and_b32_e32 v33, 1, v33                                  // 000000004844: 26424281
	v_mul_i32_i24_e32 v34, 0x80, v33                           // 000000004848: 0C4442FF 00000080
	v_add_u32_e32 v19, v34, v19                                // 000000004850: 68262722
	v_xor_b32_e32 v32, v32, v33                                // 000000004854: 2A404320
	v_mul_i32_i24_e32 v32, 8, v32                              // 000000004858: 0C404088
	v_add_u32_e32 v13, v32, v13                                // 00000000485C: 681A1B20
	v_mul_i32_i24_e32 v32, 8, v33                              // 000000004860: 0C404288
	v_xor_b32_e32 v33, 1, v33                                  // 000000004864: 2A424281
	v_mul_i32_i24_e32 v33, 8, v33                              // 000000004868: 0C424288
	v_add_u32_e32 v20, v33, v19                                // 00000000486C: 68282721
	v_add_u32_e32 v19, v32, v19                                // 000000004870: 68262720
	v_mov_b32_e32 v32, v19                                     // 000000004874: 7E400313
	v_mov_b32_e32 v33, v20                                     // 000000004878: 7E420314
	s_and_b32 s60, 1, s46                                      // 00000000487C: 863C2E81
	s_sub_i32 s61, 1, s60                                      // 000000004880: 81BD3C81
	v_mul_i32_i24_e32 v34, s61, v32                            // 000000004884: 0C44403D
	v_mul_i32_i24_e32 v35, s60, v33                            // 000000004888: 0C46423C
	v_add_u32_e32 v19, v34, v35                                // 00000000488C: 68264722
	v_mul_i32_i24_e32 v34, s60, v32                            // 000000004890: 0C44403C
	v_mul_i32_i24_e32 v35, s61, v33                            // 000000004894: 0C46423D
	v_add_u32_e32 v20, v34, v35                                // 000000004898: 68284722
	s_mul_i32 s61, 0x100, s46                                  // 00000000489C: 923D2EFF 00000100
	v_add_u32_e32 v19, s61, v19                                // 0000000048A4: 6826263D
	s_lshr_b32 s61, s46, 1                                     // 0000000048A8: 8F3D812E
	s_mul_i32 s62, 0x100, s61                                  // 0000000048AC: 923E3DFF 00000100
	v_add_u32_e32 v19, s62, v19                                // 0000000048B4: 6826263E
	v_mov_b32_e32 v21, v19                                     // 0000000048B8: 7E2A0313
	v_add_u32_e32 v21, 0x100, v21                              // 0000000048BC: 682A2AFF 00000100
	s_mul_i32 s60, 0x200, s60                                  // 0000000048C4: 923C3CFF 00000200
	s_mul_i32 s61, 0x300, s61                                  // 0000000048CC: 923D3DFF 00000300
	v_add_u32_e32 v20, s60, v20                                // 0000000048D4: 6828283C
	v_add_u32_e32 v20, s61, v20                                // 0000000048D8: 6828283D
	v_lshlrev_b32_e32 v13, 2, v13                              // 0000000048DC: 241A1A82
	v_lshlrev_b32_e32 v19, 2, v19                              // 0000000048E0: 24262682
	v_lshlrev_b32_e32 v20, 2, v20                              // 0000000048E4: 24282882
	v_lshlrev_b32_e32 v21, 2, v21                              // 0000000048E8: 242A2A82
	v_lshrrev_b32_e32 v32, 4, v0                               // 0000000048EC: 20400084
	v_mul_i32_i24_e32 v16, 4, v32                              // 0000000048F0: 0C204084
	v_and_b32_e32 v33, 3, v0                                   // 0000000048F4: 26420083
	v_add_u32_e32 v16, v33, v16                                // 0000000048F8: 68202121
	v_lshlrev_b32_e32 v16, 2, v16                              // 0000000048FC: 24202082
	v_and_b32_e32 v32, 15, v0                                  // 000000004900: 2640008F
	v_and_b32_e32 v33, 3, v32                                  // 000000004904: 26424083
	v_and_b32_e32 v34, 1, v33                                  // 000000004908: 26444281
	v_lshlrev_b32_e32 v14, 5, v34                              // 00000000490C: 241C4485
	v_lshrrev_b32_e32 v33, 1, v33                              // 000000004910: 20424281
	v_mul_i32_i24_e32 v33, 0x48, v33                           // 000000004914: 0C4242FF 00000048
	v_add_u32_e32 v14, v33, v14                                // 00000000491C: 681C1D21
	v_lshrrev_b32_e32 v33, 2, v32                              // 000000004920: 20424082
	v_lshlrev_b32_e32 v33, 1, v33                              // 000000004924: 24424281
	v_add_u32_e32 v14, v33, v14                                // 000000004928: 681C1D21
	v_lshrrev_b32_e32 v32, 5, v0                               // 00000000492C: 20400085
	v_mul_i32_i24_e32 v32, 0x90, v32                           // 000000004930: 0C4040FF 00000090
	v_and_b32_e32 v33, 16, v0                                  // 000000004938: 26420090
	v_add_u32_e32 v14, v32, v14                                // 00000000493C: 681C1D20
	v_add_u32_e32 v14, v33, v14                                // 000000004940: 681C1D21
	v_lshlrev_b32_e32 v14, 2, v14                              // 000000004944: 241C1C82
	v_lshrrev_b32_e32 v32, 5, v0                               // 000000004948: 20400085
	v_mul_i32_i24_e32 v15, 0x48, v32                           // 00000000494C: 0C1E40FF 00000048
	v_and_b32_e32 v32, 31, v0                                  // 000000004954: 2640009F
	v_lshlrev_b32_e32 v32, 1, v32                              // 000000004958: 24404081
	v_add_u32_e32 v15, v32, v15                                // 00000000495C: 681E1F20
	s_mul_i32 s60, s46, 0x90                                   // 000000004960: 923CFF2E 00000090
	v_add_u32_e32 v15, s60, v15                                // 000000004968: 681E1E3C
	v_lshlrev_b32_e32 v15, 2, v15                              // 00000000496C: 241E1E82
	s_mul_i32 s60, s46, 0x400                                  // 000000004970: 923CFF2E 00000400
	s_add_u32 m0, 0, s60                                       // 000000004978: 807C3C80
	buffer_load_dwordx4 v4, s[16:19], 0 idxen lds              // 00000000497C: E05D2000 80040004
	s_add_u32 m0, 0x1000, m0                                   // 000000004984: 807C7CFF 00001000
	s_mul_i32 s60, 4, s7                                       // 00000000498C: 923C0784
	v_add_u32_e32 v4, s60, v4                                  // 000000004990: 6808083C
	buffer_load_dwordx4 v4, s[16:19], 0 idxen lds              // 000000004994: E05D2000 80040004
	s_add_u32 m0, 0x1000, m0                                   // 00000000499C: 807C7CFF 00001000
	s_mul_i32 s60, 4, s7                                       // 0000000049A4: 923C0784
	v_add_u32_e32 v4, s60, v4                                  // 0000000049A8: 6808083C
	buffer_load_dwordx4 v4, s[16:19], 0 idxen lds              // 0000000049AC: E05D2000 80040004
	s_add_u32 m0, 0x1000, m0                                   // 0000000049B4: 807C7CFF 00001000
	s_mul_i32 s60, 4, s7                                       // 0000000049BC: 923C0784
	v_add_u32_e32 v4, s60, v4                                  // 0000000049C0: 6808083C
	buffer_load_dwordx4 v4, s[16:19], 0 idxen lds              // 0000000049C4: E05D2000 80040004
	s_add_u32 m0, 0x1000, m0                                   // 0000000049CC: 807C7CFF 00001000
	s_mul_i32 s60, 4, s7                                       // 0000000049D4: 923C0784
	v_add_u32_e32 v4, s60, v4                                  // 0000000049D8: 6808083C
	buffer_load_dwordx4 v4, s[16:19], 0 idxen lds              // 0000000049DC: E05D2000 80040004
	s_add_u32 m0, 0x1000, m0                                   // 0000000049E4: 807C7CFF 00001000
	s_mul_i32 s60, 4, s7                                       // 0000000049EC: 923C0784
	v_add_u32_e32 v4, s60, v4                                  // 0000000049F0: 6808083C
	buffer_load_dwordx4 v4, s[16:19], 0 idxen lds              // 0000000049F4: E05D2000 80040004
	s_add_u32 m0, 0x1000, m0                                   // 0000000049FC: 807C7CFF 00001000
	s_mul_i32 s60, 4, s7                                       // 000000004A04: 923C0784
	v_add_u32_e32 v4, s60, v4                                  // 000000004A08: 6808083C
	buffer_load_dwordx4 v4, s[16:19], 0 idxen lds              // 000000004A0C: E05D2000 80040004
	s_add_u32 m0, 0x1000, m0                                   // 000000004A14: 807C7CFF 00001000
	s_mul_i32 s60, 4, s7                                       // 000000004A1C: 923C0784
	v_add_u32_e32 v4, s60, v4                                  // 000000004A20: 6808083C
	buffer_load_dwordx4 v4, s[16:19], 0 idxen lds              // 000000004A24: E05D2000 80040004
	s_add_u32 m0, 0x1000, m0                                   // 000000004A2C: 807C7CFF 00001000
	s_mul_i32 s60, 4, s7                                       // 000000004A34: 923C0784
	v_add_u32_e32 v4, s60, v4                                  // 000000004A38: 6808083C
	buffer_load_dwordx4 v4, s[16:19], 0 idxen lds              // 000000004A3C: E05D2000 80040004
	s_add_u32 m0, 0x1000, m0                                   // 000000004A44: 807C7CFF 00001000
	s_mul_i32 s60, 4, s7                                       // 000000004A4C: 923C0784
	v_add_u32_e32 v4, s60, v4                                  // 000000004A50: 6808083C
	buffer_load_dwordx4 v4, s[16:19], 0 idxen lds              // 000000004A54: E05D2000 80040004
	s_add_u32 m0, 0x1000, m0                                   // 000000004A5C: 807C7CFF 00001000
	s_mul_i32 s60, 4, s7                                       // 000000004A64: 923C0784
	v_add_u32_e32 v4, s60, v4                                  // 000000004A68: 6808083C
	buffer_load_dwordx4 v4, s[16:19], 0 idxen lds              // 000000004A6C: E05D2000 80040004
	s_add_u32 m0, 0x1000, m0                                   // 000000004A74: 807C7CFF 00001000
	s_mul_i32 s60, 4, s7                                       // 000000004A7C: 923C0784
	v_add_u32_e32 v4, s60, v4                                  // 000000004A80: 6808083C
	buffer_load_dwordx4 v4, s[16:19], 0 idxen lds              // 000000004A84: E05D2000 80040004
	s_add_u32 m0, 0x1000, m0                                   // 000000004A8C: 807C7CFF 00001000
	s_mul_i32 s60, 4, s7                                       // 000000004A94: 923C0784
	v_add_u32_e32 v4, s60, v4                                  // 000000004A98: 6808083C
	s_mul_i32 s60, s46, 0x400                                  // 000000004A9C: 923CFF2E 00000400
	s_mul_i32 s61, s46, 0x100                                  // 000000004AA4: 923DFF2E 00000100
	s_add_u32 s78, 0xc000, s60                                 // 000000004AAC: 804E3CFF 0000C000
	s_add_u32 s79, 0xc000, s61                                 // 000000004AB4: 804F3DFF 0000C000
	s_add_u32 s79, 0x1000, s79                                 // 000000004ABC: 804F4FFF 00001000
	s_add_u32 s80, 0x400, s79                                  // 000000004AC4: 80504FFF 00000400
	s_waitcnt vmcnt(8) lgkmcnt(0)                              // 000000004ACC: BF8C0078
	s_barrier                                                  // 000000004AD0: BF8A0000
	ds_read_b128 a[64:67], v18                                 // 000000004AD4: DBFE0000 40000012
	ds_read_b128 a[68:71], v18 offset:1024                     // 000000004ADC: DBFE0400 44000012
	ds_read_b128 a[72:75], v18 offset:2048                     // 000000004AE4: DBFE0800 48000012
	ds_read_b128 a[76:79], v18 offset:3072                     // 000000004AEC: DBFE0C00 4C000012
	s_waitcnt lgkmcnt(0)                                       // 000000004AF4: BF8CC07F
	s_barrier                                                  // 000000004AF8: BF8A0000
	s_mov_b32 m0, s78                                          // 000000004AFC: BEFC004E
	buffer_load_dwordx4 v1, s[12:15], 0 idxen lds              // 000000004B00: E05D2000 80030001
	s_mov_b32 m0, s79                                          // 000000004B08: BEFC004F
	buffer_load_dword v2, s[12:15], 0 idxen lds                // 000000004B0C: E0512000 80030002
	s_mov_b32 m0, s80                                          // 000000004B14: BEFC0050
	buffer_load_dword v3, s[12:15], 0 idxen lds                // 000000004B18: E0512000 80030003
	s_add_u32 s78, 0x1800, s78                                 // 000000004B20: 804E4EFF 00001800
	s_add_u32 s79, 0x1800, s79                                 // 000000004B28: 804F4FFF 00001800
	s_add_u32 s80, 0x1800, s80                                 // 000000004B30: 805050FF 00001800
	s_mul_i32 s60, 4, s6                                       // 000000004B38: 923C0684
	v_add_u32_e32 v1, s60, v1                                  // 000000004B3C: 6802023C
	v_add_u32_e32 v2, s60, v2                                  // 000000004B40: 6804043C
	v_add_u32_e32 v3, s60, v3                                  // 000000004B44: 6806063C
	s_mov_b32 m0, s78                                          // 000000004B48: BEFC004E
	buffer_load_dwordx4 v1, s[12:15], 0 idxen lds              // 000000004B4C: E05D2000 80030001
	s_mov_b32 m0, s79                                          // 000000004B54: BEFC004F
	buffer_load_dword v2, s[12:15], 0 idxen lds                // 000000004B58: E0512000 80030002
	s_mov_b32 m0, s80                                          // 000000004B60: BEFC0050
	buffer_load_dword v3, s[12:15], 0 idxen lds                // 000000004B64: E0512000 80030003
	s_add_u32 s78, 0x1800, s78                                 // 000000004B6C: 804E4EFF 00001800
	s_add_u32 s79, 0x1800, s79                                 // 000000004B74: 804F4FFF 00001800
	s_add_u32 s80, 0x1800, s80                                 // 000000004B7C: 805050FF 00001800
	s_mul_i32 s60, 4, s6                                       // 000000004B84: 923C0684
	v_add_u32_e32 v1, s60, v1                                  // 000000004B88: 6802023C
	v_add_u32_e32 v2, s60, v2                                  // 000000004B8C: 6804043C
	v_add_u32_e32 v3, s60, v3                                  // 000000004B90: 6806063C
	s_mov_b32 m0, s78                                          // 000000004B94: BEFC004E
	buffer_load_dwordx4 v1, s[12:15], 0 idxen lds              // 000000004B98: E05D2000 80030001
	s_mov_b32 m0, s79                                          // 000000004BA0: BEFC004F
	buffer_load_dword v2, s[12:15], 0 idxen lds                // 000000004BA4: E0512000 80030002
	s_mov_b32 m0, s80                                          // 000000004BAC: BEFC0050
	buffer_load_dword v3, s[12:15], 0 idxen lds                // 000000004BB0: E0512000 80030003
	s_add_u32 s78, 0x1800, s78                                 // 000000004BB8: 804E4EFF 00001800
	s_add_u32 s79, 0x1800, s79                                 // 000000004BC0: 804F4FFF 00001800
	s_add_u32 s80, 0x1800, s80                                 // 000000004BC8: 805050FF 00001800
	s_mul_i32 s60, 4, s6                                       // 000000004BD0: 923C0684
	v_add_u32_e32 v1, s60, v1                                  // 000000004BD4: 6802023C
	v_add_u32_e32 v2, s60, v2                                  // 000000004BD8: 6804043C
	v_add_u32_e32 v3, s60, v3                                  // 000000004BDC: 6806063C
	s_mov_b32 m0, s78                                          // 000000004BE0: BEFC004E
	buffer_load_dwordx4 v1, s[12:15], 0 idxen lds              // 000000004BE4: E05D2000 80030001
	s_mov_b32 m0, s79                                          // 000000004BEC: BEFC004F
	buffer_load_dword v2, s[12:15], 0 idxen lds                // 000000004BF0: E0512000 80030002
	s_mov_b32 m0, s80                                          // 000000004BF8: BEFC0050
	buffer_load_dword v3, s[12:15], 0 idxen lds                // 000000004BFC: E0512000 80030003
	s_add_u32 s78, 0x1800, s78                                 // 000000004C04: 804E4EFF 00001800
	s_add_u32 s79, 0x1800, s79                                 // 000000004C0C: 804F4FFF 00001800
	s_add_u32 s80, 0x1800, s80                                 // 000000004C14: 805050FF 00001800
	s_mul_i32 s60, 4, s6                                       // 000000004C1C: 923C0684
	v_add_u32_e32 v1, s60, v1                                  // 000000004C20: 6802023C
	v_add_u32_e32 v2, s60, v2                                  // 000000004C24: 6804043C
	v_add_u32_e32 v3, s60, v3                                  // 000000004C28: 6806063C
	s_waitcnt vmcnt(16) lgkmcnt(0)                             // 000000004C2C: BF8C4070
	s_barrier                                                  // 000000004C30: BF8A0000
	ds_read_b128 a[80:83], v18 offset:16384                    // 000000004C34: DBFE4000 50000012
	ds_read_b128 a[84:87], v18 offset:17408                    // 000000004C3C: DBFE4400 54000012
	ds_read_b128 a[88:91], v18 offset:18432                    // 000000004C44: DBFE4800 58000012
	ds_read_b128 a[92:95], v18 offset:19456                    // 000000004C4C: DBFE4C00 5C000012
	s_waitcnt lgkmcnt(0)                                       // 000000004C54: BF8CC07F
	s_barrier                                                  // 000000004C58: BF8A0000
	s_mov_b32 m0, s78                                          // 000000004C5C: BEFC004E
	buffer_load_dwordx4 v1, s[12:15], 0 idxen lds              // 000000004C60: E05D2000 80030001
	s_mov_b32 m0, s79                                          // 000000004C68: BEFC004F
	buffer_load_dword v2, s[12:15], 0 idxen lds                // 000000004C6C: E0512000 80030002
	s_mov_b32 m0, s80                                          // 000000004C74: BEFC0050
	buffer_load_dword v3, s[12:15], 0 idxen lds                // 000000004C78: E0512000 80030003
	s_add_u32 s78, 0x1800, s78                                 // 000000004C80: 804E4EFF 00001800
	s_add_u32 s79, 0x1800, s79                                 // 000000004C88: 804F4FFF 00001800
	s_add_u32 s80, 0x1800, s80                                 // 000000004C90: 805050FF 00001800
	s_mul_i32 s60, 4, s6                                       // 000000004C98: 923C0684
	v_add_u32_e32 v1, s60, v1                                  // 000000004C9C: 6802023C
	v_add_u32_e32 v2, s60, v2                                  // 000000004CA0: 6804043C
	v_add_u32_e32 v3, s60, v3                                  // 000000004CA4: 6806063C
	s_mov_b32 m0, s78                                          // 000000004CA8: BEFC004E
	buffer_load_dwordx4 v1, s[12:15], 0 idxen lds              // 000000004CAC: E05D2000 80030001
	s_mov_b32 m0, s79                                          // 000000004CB4: BEFC004F
	buffer_load_dword v2, s[12:15], 0 idxen lds                // 000000004CB8: E0512000 80030002
	s_mov_b32 m0, s80                                          // 000000004CC0: BEFC0050
	buffer_load_dword v3, s[12:15], 0 idxen lds                // 000000004CC4: E0512000 80030003
	s_add_u32 s78, 0x1800, s78                                 // 000000004CCC: 804E4EFF 00001800
	s_add_u32 s79, 0x1800, s79                                 // 000000004CD4: 804F4FFF 00001800
	s_add_u32 s80, 0x1800, s80                                 // 000000004CDC: 805050FF 00001800
	s_mul_i32 s60, 4, s6                                       // 000000004CE4: 923C0684
	v_add_u32_e32 v1, s60, v1                                  // 000000004CE8: 6802023C
	v_add_u32_e32 v2, s60, v2                                  // 000000004CEC: 6804043C
	v_add_u32_e32 v3, s60, v3                                  // 000000004CF0: 6806063C
	s_mov_b32 m0, s78                                          // 000000004CF4: BEFC004E
	buffer_load_dwordx4 v1, s[12:15], 0 idxen lds              // 000000004CF8: E05D2000 80030001
	s_mov_b32 m0, s79                                          // 000000004D00: BEFC004F
	buffer_load_dword v2, s[12:15], 0 idxen lds                // 000000004D04: E0512000 80030002
	s_mov_b32 m0, s80                                          // 000000004D0C: BEFC0050
	buffer_load_dword v3, s[12:15], 0 idxen lds                // 000000004D10: E0512000 80030003
	s_add_u32 s78, 0x1800, s78                                 // 000000004D18: 804E4EFF 00001800
	s_add_u32 s79, 0x1800, s79                                 // 000000004D20: 804F4FFF 00001800
	s_add_u32 s80, 0x1800, s80                                 // 000000004D28: 805050FF 00001800
	s_mul_i32 s60, 4, s6                                       // 000000004D30: 923C0684
	v_add_u32_e32 v1, s60, v1                                  // 000000004D34: 6802023C
	v_add_u32_e32 v2, s60, v2                                  // 000000004D38: 6804043C
	v_add_u32_e32 v3, s60, v3                                  // 000000004D3C: 6806063C
	s_mov_b32 m0, s78                                          // 000000004D40: BEFC004E
	buffer_load_dwordx4 v1, s[12:15], 0 idxen lds              // 000000004D44: E05D2000 80030001
	s_mov_b32 m0, s79                                          // 000000004D4C: BEFC004F
	buffer_load_dword v2, s[12:15], 0 idxen lds                // 000000004D50: E0512000 80030002
	s_mov_b32 m0, s80                                          // 000000004D58: BEFC0050
	buffer_load_dword v3, s[12:15], 0 idxen lds                // 000000004D5C: E0512000 80030003
	s_add_u32 s78, 0x1800, s78                                 // 000000004D64: 804E4EFF 00001800
	s_add_u32 s79, 0x1800, s79                                 // 000000004D6C: 804F4FFF 00001800
	s_add_u32 s80, 0x1800, s80                                 // 000000004D74: 805050FF 00001800
	s_mul_i32 s60, 4, s6                                       // 000000004D7C: 923C0684
	v_add_u32_e32 v1, s60, v1                                  // 000000004D80: 6802023C
	v_add_u32_e32 v2, s60, v2                                  // 000000004D84: 6804043C
	v_add_u32_e32 v3, s60, v3                                  // 000000004D88: 6806063C
	s_waitcnt vmcnt(24) lgkmcnt(0)                             // 000000004D8C: BF8C4078
	s_barrier                                                  // 000000004D90: BF8A0000
	ds_read_b128 a[96:99], v18 offset:32768                    // 000000004D94: DBFE8000 60000012
	ds_read_b128 a[100:103], v18 offset:33792                  // 000000004D9C: DBFE8400 64000012
	ds_read_b128 a[104:107], v18 offset:34816                  // 000000004DA4: DBFE8800 68000012
	ds_read_b128 a[108:111], v18 offset:35840                  // 000000004DAC: DBFE8C00 6C000012
	s_waitcnt lgkmcnt(0)                                       // 000000004DB4: BF8CC07F
	s_barrier                                                  // 000000004DB8: BF8A0000
	s_mov_b32 m0, s78                                          // 000000004DBC: BEFC004E
	buffer_load_dwordx4 v1, s[12:15], 0 idxen lds              // 000000004DC0: E05D2000 80030001
	s_mov_b32 m0, s79                                          // 000000004DC8: BEFC004F
	buffer_load_dword v2, s[12:15], 0 idxen lds                // 000000004DCC: E0512000 80030002
	s_mov_b32 m0, s80                                          // 000000004DD4: BEFC0050
	buffer_load_dword v3, s[12:15], 0 idxen lds                // 000000004DD8: E0512000 80030003
	s_add_u32 s78, 0x1800, s78                                 // 000000004DE0: 804E4EFF 00001800
	s_add_u32 s79, 0x1800, s79                                 // 000000004DE8: 804F4FFF 00001800
	s_add_u32 s80, 0x1800, s80                                 // 000000004DF0: 805050FF 00001800
	s_mul_i32 s60, 4, s6                                       // 000000004DF8: 923C0684
	v_add_u32_e32 v1, s60, v1                                  // 000000004DFC: 6802023C
	v_add_u32_e32 v2, s60, v2                                  // 000000004E00: 6804043C
	v_add_u32_e32 v3, s60, v3                                  // 000000004E04: 6806063C
	s_mov_b32 m0, s78                                          // 000000004E08: BEFC004E
	buffer_load_dwordx4 v1, s[12:15], 0 idxen lds              // 000000004E0C: E05D2000 80030001
	s_mov_b32 m0, s79                                          // 000000004E14: BEFC004F
	buffer_load_dword v2, s[12:15], 0 idxen lds                // 000000004E18: E0512000 80030002
	s_mov_b32 m0, s80                                          // 000000004E20: BEFC0050
	buffer_load_dword v3, s[12:15], 0 idxen lds                // 000000004E24: E0512000 80030003
	s_add_u32 s78, 0x1800, s78                                 // 000000004E2C: 804E4EFF 00001800
	s_add_u32 s79, 0x1800, s79                                 // 000000004E34: 804F4FFF 00001800
	s_add_u32 s80, 0x1800, s80                                 // 000000004E3C: 805050FF 00001800
	s_mul_i32 s60, 4, s6                                       // 000000004E44: 923C0684
	v_add_u32_e32 v1, s60, v1                                  // 000000004E48: 6802023C
	v_add_u32_e32 v2, s60, v2                                  // 000000004E4C: 6804043C
	v_add_u32_e32 v3, s60, v3                                  // 000000004E50: 6806063C
	s_mov_b32 m0, s78                                          // 000000004E54: BEFC004E
	buffer_load_dwordx4 v1, s[12:15], 0 idxen lds              // 000000004E58: E05D2000 80030001
	s_mov_b32 m0, s79                                          // 000000004E60: BEFC004F
	buffer_load_dword v2, s[12:15], 0 idxen lds                // 000000004E64: E0512000 80030002
	s_mov_b32 m0, s80                                          // 000000004E6C: BEFC0050
	buffer_load_dword v3, s[12:15], 0 idxen lds                // 000000004E70: E0512000 80030003
	s_add_u32 s78, 0x1800, s78                                 // 000000004E78: 804E4EFF 00001800
	s_add_u32 s79, 0x1800, s79                                 // 000000004E80: 804F4FFF 00001800
	s_add_u32 s80, 0x1800, s80                                 // 000000004E88: 805050FF 00001800
	s_mul_i32 s60, 4, s6                                       // 000000004E90: 923C0684
	v_add_u32_e32 v1, s60, v1                                  // 000000004E94: 6802023C
	v_add_u32_e32 v2, s60, v2                                  // 000000004E98: 6804043C
	v_add_u32_e32 v3, s60, v3                                  // 000000004E9C: 6806063C
	s_mov_b32 m0, s78                                          // 000000004EA0: BEFC004E
	buffer_load_dwordx4 v1, s[12:15], 0 idxen lds              // 000000004EA4: E05D2000 80030001
	s_mov_b32 m0, s79                                          // 000000004EAC: BEFC004F
	buffer_load_dword v2, s[12:15], 0 idxen lds                // 000000004EB0: E0512000 80030002
	s_mov_b32 m0, s80                                          // 000000004EB8: BEFC0050
	buffer_load_dword v3, s[12:15], 0 idxen lds                // 000000004EBC: E0512000 80030003
	s_add_u32 s78, 0x1800, s78                                 // 000000004EC4: 804E4EFF 00001800
	s_add_u32 s79, 0x1800, s79                                 // 000000004ECC: 804F4FFF 00001800
	s_add_u32 s80, 0x1800, s80                                 // 000000004ED4: 805050FF 00001800
	s_mul_i32 s60, 4, s6                                       // 000000004EDC: 923C0684
	v_add_u32_e32 v1, s60, v1                                  // 000000004EE0: 6802023C
	v_add_u32_e32 v2, s60, v2                                  // 000000004EE4: 6804043C
	v_add_u32_e32 v3, s60, v3                                  // 000000004EE8: 6806063C
	s_lshr_b32 s60, s46, 1                                     // 000000004EEC: 8F3C812E
	s_lshl_b32 s60, s60, 8                                     // 000000004EF0: 8E3C883C
	s_add_u32 s78, 0x9300, s60                                 // 000000004EF4: 804E3CFF 00009300
	s_add_u32 s79, 0x200, s78                                  // 000000004EFC: 804F4EFF 00000200
	s_add_u32 s80, 0x200, s79                                  // 000000004F04: 80504FFF 00000200
	s_mul_i32 s60, s46, 0x400                                  // 000000004F0C: 923CFF2E 00000400
	s_add_u32 s99, 0x4800, s60                                 // 000000004F14: 80633CFF 00004800
	s_add_u32 s100, 0x1000, s99                                // 000000004F1C: 806463FF 00001000
	s_add_u32 s101, 0x1000, s100                               // 000000004F24: 806564FF 00001000
	s_mul_i32 s61, s46, 0x100                                  // 000000004F2C: 923DFF2E 00000100
	s_add_u32 s81, 0, s60                                      // 000000004F34: 80513C80
	s_add_u32 s82, 0, s61                                      // 000000004F38: 80523D80
	s_add_u32 s82, 0x1000, s82                                 // 000000004F3C: 805252FF 00001000
	s_add_u32 s83, 0x400, s82                                  // 000000004F44: 805352FF 00000400
	s_add_u32 s84, 0x1800, s81                                 // 000000004F4C: 805451FF 00001800
	s_add_u32 s85, 0x1800, s82                                 // 000000004F54: 805552FF 00001800
	s_add_u32 s86, 0x1800, s83                                 // 000000004F5C: 805653FF 00001800
	s_add_u32 s87, 0x1800, s84                                 // 000000004F64: 805754FF 00001800
	s_add_u32 s88, 0x1800, s85                                 // 000000004F6C: 805855FF 00001800
	s_add_u32 s89, 0x1800, s86                                 // 000000004F74: 805956FF 00001800
	v_add_u32_e32 v17, 0xc000, v17                             // 000000004F7C: 682222FF 0000C000
	v_add_u32_e32 v19, 0xc000, v19                             // 000000004F84: 682626FF 0000C000
	v_add_u32_e32 v20, 0xc000, v20                             // 000000004F8C: 682828FF 0000C000
	v_add_u32_e32 v21, 0xc000, v21                             // 000000004F94: 682A2AFF 0000C000
	s_mov_b32 s71, s5                                          // 000000004F9C: BEC70005
	v_and_b32_e32 v32, 3, v0                                   // 000000004FA0: 26400083
	v_and_b32_e32 v33, 1, v32                                  // 000000004FA4: 26424081
	v_lshrrev_b32_e32 v34, 1, v32                              // 000000004FA8: 20444081
	v_lshrrev_b32_e32 v32, 5, v0                               // 000000004FAC: 20400085
	v_xor_b32_e32 v34, v34, v32                                // 000000004FB0: 2A444122
	v_lshlrev_b32_e32 v34, 1, v34                              // 000000004FB4: 24444481
	v_add_u32_e32 v33, v34, v33                                // 000000004FB8: 68424322
	v_lshlrev_b32_e32 v33, 4, v33                              // 000000004FBC: 24424284
	v_lshrrev_b32_e32 v32, 2, v0                               // 000000004FC0: 20400082
	v_mul_i32_i24_e32 v32, s71, v32                            // 000000004FC4: 0C404047
	v_add_u32_e32 v1, v32, v33                                 // 000000004FC8: 68024320
	s_mul_i32 s60, s46, 64                                     // 000000004FCC: 923CC02E
	v_add_u32_e32 v1, s60, v1                                  // 000000004FD0: 6802023C
	v_and_b32_e32 v32, 7, v0                                   // 000000004FD4: 26400087
	v_lshrrev_b32_e32 v33, 3, v0                               // 000000004FD8: 20420083
	v_and_b32_e32 v33, 1, v33                                  // 000000004FDC: 26424281
	s_lshr_b32 s60, s46, 1                                     // 000000004FE0: 8F3C812E
	v_xor_b32_e64 v33, v33, s60                                // 000000004FE4: D1150021 00007921
	v_lshlrev_b32_e32 v33, 3, v33                              // 000000004FEC: 24424283
	v_add_u32_e32 v32, v32, v33                                // 000000004FF0: 68404320
	v_lshlrev_b32_e32 v32, 2, v32                              // 000000004FF4: 24404082
	s_mul_i32 s60, s46, 4                                      // 000000004FF8: 923C842E
	v_lshrrev_b32_e32 v33, 4, v0                               // 000000004FFC: 20420084
	v_add_u32_e64 v33, v33, s60                                // 000000005000: D1340021 00007921
	v_mul_i32_i24_e32 v33, s71, v33                            // 000000005008: 0C424247
	v_add_u32_e32 v2, v32, v33                                 // 00000000500C: 68044320
	s_mov_b32 s60, 0x100                                       // 000000005010: BEBC00FF 00000100
	v_add_u32_e64 v2, v2, s60                                  // 000000005018: D1340002 00007902
	v_add_u32_e64 v3, v2, 64                                   // 000000005020: D1340003 00018102
	s_mul_i32 s60, s5, s59                                     // 000000005028: 923C3B05
	v_add_u32_e32 v1, s60, v1                                  // 00000000502C: 6802023C
	v_add_u32_e32 v2, s60, v2                                  // 000000005030: 6804043C
	v_add_u32_e32 v3, s60, v3                                  // 000000005034: 6806063C
	s_mov_b32 s71, s51                                         // 000000005038: BEC70033
	v_and_b32_e32 v32, 3, v0                                   // 00000000503C: 26400083
	v_and_b32_e32 v33, 1, v32                                  // 000000005040: 26424081
	v_lshrrev_b32_e32 v34, 1, v32                              // 000000005044: 20444081
	v_lshrrev_b32_e32 v32, 5, v0                               // 000000005048: 20400085
	v_xor_b32_e32 v34, v34, v32                                // 00000000504C: 2A444122
	v_lshlrev_b32_e32 v34, 1, v34                              // 000000005050: 24444481
	v_add_u32_e32 v33, v34, v33                                // 000000005054: 68424322
	v_lshlrev_b32_e32 v33, 4, v33                              // 000000005058: 24424284
	v_lshrrev_b32_e32 v32, 2, v0                               // 00000000505C: 20400082
	v_mul_i32_i24_e32 v32, s71, v32                            // 000000005060: 0C404047
	v_add_u32_e32 v4, v32, v33                                 // 000000005064: 68084320
	s_mul_i32 s60, s46, 64                                     // 000000005068: 923CC02E
	v_add_u32_e32 v4, s60, v4                                  // 00000000506C: 6808083C
	s_mul_i32 s60, s51, s59                                    // 000000005070: 923C3B33
	v_add_u32_e32 v4, s60, v4                                  // 000000005074: 6808083C
	v_lshrrev_b32_e32 v1, 2, v1                                // 000000005078: 20020282
	v_lshrrev_b32_e32 v2, 2, v2                                // 00000000507C: 20040482
	v_lshrrev_b32_e32 v3, 2, v3                                // 000000005080: 20060682
	v_lshrrev_b32_e32 v4, 2, v4                                // 000000005084: 20080882
	s_mov_b32 m0, s81                                          // 000000005088: BEFC0051
	buffer_load_dwordx4 v1, s[8:11], 0 idxen lds               // 00000000508C: E05D2000 80020001
	s_mov_b32 m0, s82                                          // 000000005094: BEFC0052
	buffer_load_dword v2, s[8:11], 0 idxen lds                 // 000000005098: E0512000 80020002
	s_mov_b32 m0, s83                                          // 0000000050A0: BEFC0053
	buffer_load_dword v3, s[8:11], 0 idxen lds                 // 0000000050A4: E0512000 80020003
	s_mov_b32 m0, s99                                          // 0000000050AC: BEFC0063
	buffer_load_dwordx4 v4, s[20:23], 0 idxen lds              // 0000000050B0: E05D2000 80050004
	s_mov_b32 m0, s78                                          // 0000000050B8: BEFC004E
	buffer_load_dword v11, s[24:27], 0 idxen lds               // 0000000050BC: E0512000 8006000B
	v_add_u32_e32 v1, s68, v1                                  // 0000000050C4: 68020244
	v_add_u32_e32 v2, s68, v2                                  // 0000000050C8: 68040444
	v_add_u32_e32 v3, s68, v3                                  // 0000000050CC: 68060644
	v_add_u32_e32 v4, s98, v4                                  // 0000000050D0: 68080862
	v_add_u32_e32 v11, s69, v11                                // 0000000050D4: 68161645
	s_mov_b32 m0, s84                                          // 0000000050D8: BEFC0054
	buffer_load_dwordx4 v1, s[8:11], 0 idxen lds               // 0000000050DC: E05D2000 80020001
	s_mov_b32 m0, s85                                          // 0000000050E4: BEFC0055
	buffer_load_dword v2, s[8:11], 0 idxen lds                 // 0000000050E8: E0512000 80020002
	s_mov_b32 m0, s86                                          // 0000000050F0: BEFC0056
	buffer_load_dword v3, s[8:11], 0 idxen lds                 // 0000000050F4: E0512000 80020003
	s_mov_b32 m0, s100                                         // 0000000050FC: BEFC0064
	buffer_load_dwordx4 v4, s[20:23], 0 idxen lds              // 000000005100: E05D2000 80050004
	s_mov_b32 m0, s79                                          // 000000005108: BEFC004F
	buffer_load_dword v11, s[24:27], 0 idxen lds               // 00000000510C: E0512000 8006000B
	v_add_u32_e32 v1, s68, v1                                  // 000000005114: 68020244
	v_add_u32_e32 v2, s68, v2                                  // 000000005118: 68040444
	v_add_u32_e32 v3, s68, v3                                  // 00000000511C: 68060644
	v_add_u32_e32 v4, s98, v4                                  // 000000005120: 68080862
	v_add_u32_e32 v11, s69, v11                                // 000000005124: 68161645
	s_waitcnt vmcnt(5) lgkmcnt(0)                              // 000000005128: BF8C0075
	s_barrier                                                  // 00000000512C: BF8A0000
	ds_read_b128 v[224:227], v12                               // 000000005130: D9FE0000 E000000C
	ds_read_b128 v[228:231], v12 offset:1024                   // 000000005138: D9FE0400 E400000C
	ds_read_b128 v[232:235], v12 offset:2048                   // 000000005140: D9FE0800 E800000C
	ds_read_b128 v[236:239], v12 offset:3072                   // 000000005148: D9FE0C00 EC00000C
	ds_read_b128 v[240:243], v12 offset:4096                   // 000000005150: D9FE1000 F000000C
	ds_read_b128 v[244:247], v12 offset:5120                   // 000000005158: D9FE1400 F400000C
	ds_read_b32 v104, v16 offset:37632                         // 000000005160: D86C9300 68000010
	ds_read_b32 v126, v16 offset:37888                         // 000000005168: D86C9400 7E000010
	ds_read_b128 a[0:3], v17                                   // 000000005170: DBFE0000 00000011
	ds_read_b128 a[4:7], v17 offset:1024                       // 000000005178: DBFE0400 04000011
	ds_read_b128 a[8:11], v17 offset:2048                      // 000000005180: DBFE0800 08000011
	ds_read_b128 a[12:15], v17 offset:3072                     // 000000005188: DBFE0C00 0C000011
	ds_read_b128 a[16:19], v17 offset:4096                     // 000000005190: DBFE1000 10000011
	ds_read_b128 a[20:23], v17 offset:5120                     // 000000005198: DBFE1400 14000011
	ds_read_b128 a[24:27], v17 offset:24576                    // 0000000051A0: DBFE6000 18000011
	ds_read_b128 a[28:31], v17 offset:25600                    // 0000000051A8: DBFE6400 1C000011
	ds_read_b128 a[32:35], v17 offset:26624                    // 0000000051B0: DBFE6800 20000011
	ds_read_b128 a[36:39], v17 offset:27648                    // 0000000051B8: DBFE6C00 24000011
	ds_read_b128 a[40:43], v17 offset:28672                    // 0000000051C0: DBFE7000 28000011
	ds_read_b128 a[44:47], v17 offset:29696                    // 0000000051C8: DBFE7400 2C000011
	v_accvgpr_write_b32 a112, 0                                // 0000000051D0: D3D94070 18000080
	v_accvgpr_write_b32 a113, 0                                // 0000000051D8: D3D94071 18000080
	v_accvgpr_write_b32 a114, 0                                // 0000000051E0: D3D94072 18000080
	v_accvgpr_write_b32 a115, 0                                // 0000000051E8: D3D94073 18000080
	v_accvgpr_write_b32 a116, 0                                // 0000000051F0: D3D94074 18000080
	v_accvgpr_write_b32 a117, 0                                // 0000000051F8: D3D94075 18000080
	v_accvgpr_write_b32 a118, 0                                // 000000005200: D3D94076 18000080
	v_accvgpr_write_b32 a119, 0                                // 000000005208: D3D94077 18000080
	v_accvgpr_write_b32 a120, 0                                // 000000005210: D3D94078 18000080
	v_accvgpr_write_b32 a121, 0                                // 000000005218: D3D94079 18000080
	v_accvgpr_write_b32 a122, 0                                // 000000005220: D3D9407A 18000080
	v_accvgpr_write_b32 a123, 0                                // 000000005228: D3D9407B 18000080
	v_accvgpr_write_b32 a124, 0                                // 000000005230: D3D9407C 18000080
	v_accvgpr_write_b32 a125, 0                                // 000000005238: D3D9407D 18000080
	v_accvgpr_write_b32 a126, 0                                // 000000005240: D3D9407E 18000080
	v_accvgpr_write_b32 a127, 0                                // 000000005248: D3D9407F 18000080
	v_accvgpr_write_b32 a128, 0                                // 000000005250: D3D94080 18000080
	v_accvgpr_write_b32 a129, 0                                // 000000005258: D3D94081 18000080
	v_accvgpr_write_b32 a130, 0                                // 000000005260: D3D94082 18000080
	v_accvgpr_write_b32 a131, 0                                // 000000005268: D3D94083 18000080
	v_accvgpr_write_b32 a132, 0                                // 000000005270: D3D94084 18000080
	v_accvgpr_write_b32 a133, 0                                // 000000005278: D3D94085 18000080
	v_accvgpr_write_b32 a134, 0                                // 000000005280: D3D94086 18000080
	v_accvgpr_write_b32 a135, 0                                // 000000005288: D3D94087 18000080
	v_accvgpr_write_b32 a136, 0                                // 000000005290: D3D94088 18000080
	v_accvgpr_write_b32 a137, 0                                // 000000005298: D3D94089 18000080
	v_accvgpr_write_b32 a138, 0                                // 0000000052A0: D3D9408A 18000080
	v_accvgpr_write_b32 a139, 0                                // 0000000052A8: D3D9408B 18000080
	v_accvgpr_write_b32 a140, 0                                // 0000000052B0: D3D9408C 18000080
	v_accvgpr_write_b32 a141, 0                                // 0000000052B8: D3D9408D 18000080
	v_accvgpr_write_b32 a142, 0                                // 0000000052C0: D3D9408E 18000080
	v_accvgpr_write_b32 a143, 0                                // 0000000052C8: D3D9408F 18000080
	v_accvgpr_write_b32 a144, 0                                // 0000000052D0: D3D94090 18000080
	v_accvgpr_write_b32 a145, 0                                // 0000000052D8: D3D94091 18000080
	v_accvgpr_write_b32 a146, 0                                // 0000000052E0: D3D94092 18000080
	v_accvgpr_write_b32 a147, 0                                // 0000000052E8: D3D94093 18000080
	v_accvgpr_write_b32 a148, 0                                // 0000000052F0: D3D94094 18000080
	v_accvgpr_write_b32 a149, 0                                // 0000000052F8: D3D94095 18000080
	v_accvgpr_write_b32 a150, 0                                // 000000005300: D3D94096 18000080
	v_accvgpr_write_b32 a151, 0                                // 000000005308: D3D94097 18000080
	v_accvgpr_write_b32 a152, 0                                // 000000005310: D3D94098 18000080
	v_accvgpr_write_b32 a153, 0                                // 000000005318: D3D94099 18000080
	v_accvgpr_write_b32 a154, 0                                // 000000005320: D3D9409A 18000080
	v_accvgpr_write_b32 a155, 0                                // 000000005328: D3D9409B 18000080
	v_accvgpr_write_b32 a156, 0                                // 000000005330: D3D9409C 18000080
	v_accvgpr_write_b32 a157, 0                                // 000000005338: D3D9409D 18000080
	v_accvgpr_write_b32 a158, 0                                // 000000005340: D3D9409E 18000080
	v_accvgpr_write_b32 a159, 0                                // 000000005348: D3D9409F 18000080
	v_accvgpr_write_b32 a160, 0                                // 000000005350: D3D940A0 18000080
	v_accvgpr_write_b32 a161, 0                                // 000000005358: D3D940A1 18000080
	v_accvgpr_write_b32 a162, 0                                // 000000005360: D3D940A2 18000080
	v_accvgpr_write_b32 a163, 0                                // 000000005368: D3D940A3 18000080
	v_accvgpr_write_b32 a164, 0                                // 000000005370: D3D940A4 18000080
	v_accvgpr_write_b32 a165, 0                                // 000000005378: D3D940A5 18000080
	v_accvgpr_write_b32 a166, 0                                // 000000005380: D3D940A6 18000080
	v_accvgpr_write_b32 a167, 0                                // 000000005388: D3D940A7 18000080
	v_accvgpr_write_b32 a168, 0                                // 000000005390: D3D940A8 18000080
	v_accvgpr_write_b32 a169, 0                                // 000000005398: D3D940A9 18000080
	v_accvgpr_write_b32 a170, 0                                // 0000000053A0: D3D940AA 18000080
	v_accvgpr_write_b32 a171, 0                                // 0000000053A8: D3D940AB 18000080
	v_accvgpr_write_b32 a172, 0                                // 0000000053B0: D3D940AC 18000080
	v_accvgpr_write_b32 a173, 0                                // 0000000053B8: D3D940AD 18000080
	v_accvgpr_write_b32 a174, 0                                // 0000000053C0: D3D940AE 18000080
	v_accvgpr_write_b32 a175, 0                                // 0000000053C8: D3D940AF 18000080
	v_accvgpr_write_b32 a176, 0                                // 0000000053D0: D3D940B0 18000080
	v_accvgpr_write_b32 a177, 0                                // 0000000053D8: D3D940B1 18000080
	v_accvgpr_write_b32 a178, 0                                // 0000000053E0: D3D940B2 18000080
	v_accvgpr_write_b32 a179, 0                                // 0000000053E8: D3D940B3 18000080
	v_accvgpr_write_b32 a180, 0                                // 0000000053F0: D3D940B4 18000080
	v_accvgpr_write_b32 a181, 0                                // 0000000053F8: D3D940B5 18000080
	v_accvgpr_write_b32 a182, 0                                // 000000005400: D3D940B6 18000080
	v_accvgpr_write_b32 a183, 0                                // 000000005408: D3D940B7 18000080
	v_accvgpr_write_b32 a184, 0                                // 000000005410: D3D940B8 18000080
	v_accvgpr_write_b32 a185, 0                                // 000000005418: D3D940B9 18000080
	v_accvgpr_write_b32 a186, 0                                // 000000005420: D3D940BA 18000080
	v_accvgpr_write_b32 a187, 0                                // 000000005428: D3D940BB 18000080
	v_accvgpr_write_b32 a188, 0                                // 000000005430: D3D940BC 18000080
	v_accvgpr_write_b32 a189, 0                                // 000000005438: D3D940BD 18000080
	v_accvgpr_write_b32 a190, 0                                // 000000005440: D3D940BE 18000080
	v_accvgpr_write_b32 a191, 0                                // 000000005448: D3D940BF 18000080
	v_accvgpr_write_b32 a192, 0                                // 000000005450: D3D940C0 18000080
	v_accvgpr_write_b32 a193, 0                                // 000000005458: D3D940C1 18000080
	v_accvgpr_write_b32 a194, 0                                // 000000005460: D3D940C2 18000080
	v_accvgpr_write_b32 a195, 0                                // 000000005468: D3D940C3 18000080
	v_accvgpr_write_b32 a196, 0                                // 000000005470: D3D940C4 18000080
	v_accvgpr_write_b32 a197, 0                                // 000000005478: D3D940C5 18000080
	v_accvgpr_write_b32 a198, 0                                // 000000005480: D3D940C6 18000080
	v_accvgpr_write_b32 a199, 0                                // 000000005488: D3D940C7 18000080
	v_accvgpr_write_b32 a200, 0                                // 000000005490: D3D940C8 18000080
	v_accvgpr_write_b32 a201, 0                                // 000000005498: D3D940C9 18000080
	v_accvgpr_write_b32 a202, 0                                // 0000000054A0: D3D940CA 18000080
	v_accvgpr_write_b32 a203, 0                                // 0000000054A8: D3D940CB 18000080
	v_accvgpr_write_b32 a204, 0                                // 0000000054B0: D3D940CC 18000080
	v_accvgpr_write_b32 a205, 0                                // 0000000054B8: D3D940CD 18000080
	v_accvgpr_write_b32 a206, 0                                // 0000000054C0: D3D940CE 18000080
	v_accvgpr_write_b32 a207, 0                                // 0000000054C8: D3D940CF 18000080
	v_accvgpr_write_b32 a208, 0                                // 0000000054D0: D3D940D0 18000080
	v_accvgpr_write_b32 a209, 0                                // 0000000054D8: D3D940D1 18000080
	v_accvgpr_write_b32 a210, 0                                // 0000000054E0: D3D940D2 18000080
	v_accvgpr_write_b32 a211, 0                                // 0000000054E8: D3D940D3 18000080
	v_accvgpr_write_b32 a212, 0                                // 0000000054F0: D3D940D4 18000080
	v_accvgpr_write_b32 a213, 0                                // 0000000054F8: D3D940D5 18000080
	v_accvgpr_write_b32 a214, 0                                // 000000005500: D3D940D6 18000080
	v_accvgpr_write_b32 a215, 0                                // 000000005508: D3D940D7 18000080
	v_accvgpr_write_b32 a216, 0                                // 000000005510: D3D940D8 18000080
	v_accvgpr_write_b32 a217, 0                                // 000000005518: D3D940D9 18000080
	v_accvgpr_write_b32 a218, 0                                // 000000005520: D3D940DA 18000080
	v_accvgpr_write_b32 a219, 0                                // 000000005528: D3D940DB 18000080
	v_accvgpr_write_b32 a220, 0                                // 000000005530: D3D940DC 18000080
	v_accvgpr_write_b32 a221, 0                                // 000000005538: D3D940DD 18000080
	v_accvgpr_write_b32 a222, 0                                // 000000005540: D3D940DE 18000080
	v_accvgpr_write_b32 a223, 0                                // 000000005548: D3D940DF 18000080
	v_accvgpr_write_b32 a224, 0                                // 000000005550: D3D940E0 18000080
	v_accvgpr_write_b32 a225, 0                                // 000000005558: D3D940E1 18000080
	v_accvgpr_write_b32 a226, 0                                // 000000005560: D3D940E2 18000080
	v_accvgpr_write_b32 a227, 0                                // 000000005568: D3D940E3 18000080
	v_accvgpr_write_b32 a228, 0                                // 000000005570: D3D940E4 18000080
	v_accvgpr_write_b32 a229, 0                                // 000000005578: D3D940E5 18000080
	v_accvgpr_write_b32 a230, 0                                // 000000005580: D3D940E6 18000080
	v_accvgpr_write_b32 a231, 0                                // 000000005588: D3D940E7 18000080
	v_accvgpr_write_b32 a232, 0                                // 000000005590: D3D940E8 18000080
	v_accvgpr_write_b32 a233, 0                                // 000000005598: D3D940E9 18000080
	v_accvgpr_write_b32 a234, 0                                // 0000000055A0: D3D940EA 18000080
	v_accvgpr_write_b32 a235, 0                                // 0000000055A8: D3D940EB 18000080
	v_accvgpr_write_b32 a236, 0                                // 0000000055B0: D3D940EC 18000080
	v_accvgpr_write_b32 a237, 0                                // 0000000055B8: D3D940ED 18000080
	v_accvgpr_write_b32 a238, 0                                // 0000000055C0: D3D940EE 18000080
	v_accvgpr_write_b32 a239, 0                                // 0000000055C8: D3D940EF 18000080
	v_accvgpr_write_b32 a240, 0                                // 0000000055D0: D3D940F0 18000080
	v_accvgpr_write_b32 a241, 0                                // 0000000055D8: D3D940F1 18000080
	v_accvgpr_write_b32 a242, 0                                // 0000000055E0: D3D940F2 18000080
	v_accvgpr_write_b32 a243, 0                                // 0000000055E8: D3D940F3 18000080
	v_accvgpr_write_b32 a244, 0                                // 0000000055F0: D3D940F4 18000080
	v_accvgpr_write_b32 a245, 0                                // 0000000055F8: D3D940F5 18000080
	v_accvgpr_write_b32 a246, 0                                // 000000005600: D3D940F6 18000080
	v_accvgpr_write_b32 a247, 0                                // 000000005608: D3D940F7 18000080
	v_accvgpr_write_b32 a248, 0                                // 000000005610: D3D940F8 18000080
	v_accvgpr_write_b32 a249, 0                                // 000000005618: D3D940F9 18000080
	v_accvgpr_write_b32 a250, 0                                // 000000005620: D3D940FA 18000080
	v_accvgpr_write_b32 a251, 0                                // 000000005628: D3D940FB 18000080
	v_accvgpr_write_b32 a252, 0                                // 000000005630: D3D940FC 18000080
	v_accvgpr_write_b32 a253, 0                                // 000000005638: D3D940FD 18000080
	v_accvgpr_write_b32 a254, 0                                // 000000005640: D3D940FE 18000080
	v_accvgpr_write_b32 a255, 0                                // 000000005648: D3D940FF 18000080
	v_mov_b32_e32 v128, 0                                      // 000000005650: 7F000280
	v_mov_b32_e32 v129, 0                                      // 000000005654: 7F020280
	v_mov_b32_e32 v130, 0                                      // 000000005658: 7F040280
	v_mov_b32_e32 v131, 0                                      // 00000000565C: 7F060280
	v_mov_b32_e32 v132, 0                                      // 000000005660: 7F080280
	v_mov_b32_e32 v133, 0                                      // 000000005664: 7F0A0280
	v_mov_b32_e32 v134, 0                                      // 000000005668: 7F0C0280
	v_mov_b32_e32 v135, 0                                      // 00000000566C: 7F0E0280
	v_mov_b32_e32 v136, 0                                      // 000000005670: 7F100280
	v_mov_b32_e32 v137, 0                                      // 000000005674: 7F120280
	v_mov_b32_e32 v138, 0                                      // 000000005678: 7F140280
	v_mov_b32_e32 v139, 0                                      // 00000000567C: 7F160280
	v_mov_b32_e32 v140, 0                                      // 000000005680: 7F180280
	v_mov_b32_e32 v141, 0                                      // 000000005684: 7F1A0280
	v_mov_b32_e32 v142, 0                                      // 000000005688: 7F1C0280
	v_mov_b32_e32 v143, 0                                      // 00000000568C: 7F1E0280
	v_mov_b32_e32 v144, 0                                      // 000000005690: 7F200280
	v_mov_b32_e32 v145, 0                                      // 000000005694: 7F220280
	v_mov_b32_e32 v146, 0                                      // 000000005698: 7F240280
	v_mov_b32_e32 v147, 0                                      // 00000000569C: 7F260280
	v_mov_b32_e32 v148, 0                                      // 0000000056A0: 7F280280
	v_mov_b32_e32 v149, 0                                      // 0000000056A4: 7F2A0280
	v_mov_b32_e32 v150, 0                                      // 0000000056A8: 7F2C0280
	v_mov_b32_e32 v151, 0                                      // 0000000056AC: 7F2E0280
	v_mov_b32_e32 v152, 0                                      // 0000000056B0: 7F300280
	v_mov_b32_e32 v153, 0                                      // 0000000056B4: 7F320280
	v_mov_b32_e32 v154, 0                                      // 0000000056B8: 7F340280
	v_mov_b32_e32 v155, 0                                      // 0000000056BC: 7F360280
	v_mov_b32_e32 v156, 0                                      // 0000000056C0: 7F380280
	v_mov_b32_e32 v157, 0                                      // 0000000056C4: 7F3A0280
	v_mov_b32_e32 v158, 0                                      // 0000000056C8: 7F3C0280
	v_mov_b32_e32 v159, 0                                      // 0000000056CC: 7F3E0280
	v_mov_b32_e32 v160, 0                                      // 0000000056D0: 7F400280
	v_mov_b32_e32 v161, 0                                      // 0000000056D4: 7F420280
	v_mov_b32_e32 v162, 0                                      // 0000000056D8: 7F440280
	v_mov_b32_e32 v163, 0                                      // 0000000056DC: 7F460280
	v_mov_b32_e32 v164, 0                                      // 0000000056E0: 7F480280
	v_mov_b32_e32 v165, 0                                      // 0000000056E4: 7F4A0280
	v_mov_b32_e32 v166, 0                                      // 0000000056E8: 7F4C0280
	v_mov_b32_e32 v167, 0                                      // 0000000056EC: 7F4E0280
	v_mov_b32_e32 v168, 0                                      // 0000000056F0: 7F500280
	v_mov_b32_e32 v169, 0                                      // 0000000056F4: 7F520280
	v_mov_b32_e32 v170, 0                                      // 0000000056F8: 7F540280
	v_mov_b32_e32 v171, 0                                      // 0000000056FC: 7F560280
	v_mov_b32_e32 v172, 0                                      // 000000005700: 7F580280
	v_mov_b32_e32 v173, 0                                      // 000000005704: 7F5A0280
	v_mov_b32_e32 v174, 0                                      // 000000005708: 7F5C0280
	v_mov_b32_e32 v175, 0                                      // 00000000570C: 7F5E0280
	v_mov_b32_e32 v176, 0                                      // 000000005710: 7F600280
	v_mov_b32_e32 v177, 0                                      // 000000005714: 7F620280
	v_mov_b32_e32 v178, 0                                      // 000000005718: 7F640280
	v_mov_b32_e32 v179, 0                                      // 00000000571C: 7F660280
	v_mov_b32_e32 v180, 0                                      // 000000005720: 7F680280
	v_mov_b32_e32 v181, 0                                      // 000000005724: 7F6A0280
	v_mov_b32_e32 v182, 0                                      // 000000005728: 7F6C0280
	v_mov_b32_e32 v183, 0                                      // 00000000572C: 7F6E0280
	v_mov_b32_e32 v184, 0                                      // 000000005730: 7F700280
	v_mov_b32_e32 v185, 0                                      // 000000005734: 7F720280
	v_mov_b32_e32 v186, 0                                      // 000000005738: 7F740280
	v_mov_b32_e32 v187, 0                                      // 00000000573C: 7F760280
	v_mov_b32_e32 v188, 0                                      // 000000005740: 7F780280
	v_mov_b32_e32 v189, 0                                      // 000000005744: 7F7A0280
	v_mov_b32_e32 v190, 0                                      // 000000005748: 7F7C0280
	v_mov_b32_e32 v191, 0                                      // 00000000574C: 7F7E0280
	v_mov_b32_e32 v192, 0                                      // 000000005750: 7F800280
	v_mov_b32_e32 v193, 0                                      // 000000005754: 7F820280
	v_mov_b32_e32 v194, 0                                      // 000000005758: 7F840280
	v_mov_b32_e32 v195, 0                                      // 00000000575C: 7F860280
	v_mov_b32_e32 v196, 0                                      // 000000005760: 7F880280
	v_mov_b32_e32 v197, 0                                      // 000000005764: 7F8A0280
	v_mov_b32_e32 v198, 0                                      // 000000005768: 7F8C0280
	v_mov_b32_e32 v199, 0                                      // 00000000576C: 7F8E0280
	v_mov_b32_e32 v200, 0                                      // 000000005770: 7F900280
	v_mov_b32_e32 v201, 0                                      // 000000005774: 7F920280
	v_mov_b32_e32 v202, 0                                      // 000000005778: 7F940280
	v_mov_b32_e32 v203, 0                                      // 00000000577C: 7F960280
	v_mov_b32_e32 v204, 0                                      // 000000005780: 7F980280
	v_mov_b32_e32 v205, 0                                      // 000000005784: 7F9A0280
	v_mov_b32_e32 v206, 0                                      // 000000005788: 7F9C0280
	v_mov_b32_e32 v207, 0                                      // 00000000578C: 7F9E0280
	v_mov_b32_e32 v208, 0                                      // 000000005790: 7FA00280
	v_mov_b32_e32 v209, 0                                      // 000000005794: 7FA20280
	v_mov_b32_e32 v210, 0                                      // 000000005798: 7FA40280
	v_mov_b32_e32 v211, 0                                      // 00000000579C: 7FA60280
	v_mov_b32_e32 v212, 0                                      // 0000000057A0: 7FA80280
	v_mov_b32_e32 v213, 0                                      // 0000000057A4: 7FAA0280
	v_mov_b32_e32 v214, 0                                      // 0000000057A8: 7FAC0280
	v_mov_b32_e32 v215, 0                                      // 0000000057AC: 7FAE0280
	v_mov_b32_e32 v216, 0                                      // 0000000057B0: 7FB00280
	v_mov_b32_e32 v217, 0                                      // 0000000057B4: 7FB20280
	v_mov_b32_e32 v218, 0                                      // 0000000057B8: 7FB40280
	v_mov_b32_e32 v219, 0                                      // 0000000057BC: 7FB60280
	v_mov_b32_e32 v220, 0                                      // 0000000057C0: 7FB80280
	v_mov_b32_e32 v221, 0                                      // 0000000057C4: 7FBA0280
	v_mov_b32_e32 v222, 0                                      // 0000000057C8: 7FBC0280
	v_mov_b32_e32 v223, 0                                      // 0000000057CC: 7FBE0280
	v_mov_b32_e32 v108, 0                                      // 0000000057D0: 7ED80280
	v_mov_b32_e32 v109, 0                                      // 0000000057D4: 7EDA0280
	v_mov_b32_e32 v110, 0                                      // 0000000057D8: 7EDC0280
	v_mov_b32_e32 v111, 0                                      // 0000000057DC: 7EDE0280
	v_mov_b32_e32 v112, 0                                      // 0000000057E0: 7EE00280
	v_mov_b32_e32 v113, 0                                      // 0000000057E4: 7EE20280
	v_mov_b32_e32 v114, 0                                      // 0000000057E8: 7EE40280
	v_mov_b32_e32 v115, 0                                      // 0000000057EC: 7EE60280
	v_mov_b32_e32 v116, 0                                      // 0000000057F0: 7EE80280
	v_mov_b32_e32 v117, 0                                      // 0000000057F4: 7EEA0280
	v_mov_b32_e32 v118, 0                                      // 0000000057F8: 7EEC0280
	v_mov_b32_e32 v119, 0                                      // 0000000057FC: 7EEE0280
	s_waitcnt vmcnt(0) lgkmcnt(0)                              // 000000005800: BF8C0070
	s_barrier                                                  // 000000005804: BF8A0000
	s_mov_b32 m0, s87                                          // 000000005808: BEFC0057
	buffer_load_dwordx4 v1, s[8:11], 0 idxen lds               // 00000000580C: E05D2000 80020001
	s_mov_b32 m0, s88                                          // 000000005814: BEFC0058
	buffer_load_dword v2, s[8:11], 0 idxen lds                 // 000000005818: E0512000 80020002
	s_mov_b32 m0, s89                                          // 000000005820: BEFC0059
	buffer_load_dword v3, s[8:11], 0 idxen lds                 // 000000005824: E0512000 80020003
	s_mov_b32 m0, s101                                         // 00000000582C: BEFC0065
	buffer_load_dwordx4 v4, s[20:23], 0 idxen lds              // 000000005830: E05D2000 80050004
	s_mov_b32 m0, s80                                          // 000000005838: BEFC0050
	buffer_load_dword v11, s[24:27], 0 idxen lds               // 00000000583C: E0512000 8006000B
	v_mul_f32_e32 v104, s48, v104                              // 000000005844: 0AD0D030
	v_add_u32_e32 v1, s68, v1                                  // 000000005848: 68020244
	v_add_u32_e32 v2, s68, v2                                  // 00000000584C: 68040444
	v_add_u32_e32 v3, s68, v3                                  // 000000005850: 68060644
	v_add_u32_e32 v4, s98, v4                                  // 000000005854: 68080862
	v_add_u32_e32 v11, s69, v11                                // 000000005858: 68161645
	v_mov_b32_dpp v107, v104 quad_perm:[3,3,3,3] row_mask:0xf bank_mask:0xf// 00000000585C: 7ED602FA FF00FF68
	v_mov_b32_dpp v106, v104 quad_perm:[2,2,2,2] row_mask:0xf bank_mask:0xf// 000000005864: 7ED402FA FF00AA68
	v_mov_b32_dpp v105, v104 quad_perm:[1,1,1,1] row_mask:0xf bank_mask:0xf// 00000000586C: 7ED202FA FF005568
	v_mov_b32_dpp v104, v104 quad_perm:[0,0,0,0] row_mask:0xf bank_mask:0xf// 000000005874: 7ED002FA FF000068
	s_cmp_lt_i32 s46, 2                                        // 00000000587C: BF04822E
	s_cbranch_scc0 label_0E9A                                  // 000000005880: BF84086A
	s_nop 0                                                    // 000000005884: BF800000
	s_nop 0                                                    // 000000005888: BF800000

000000000000588c <label_0623>:
	s_waitcnt lgkmcnt(2)                                       // 00000000588C: BF8CC27F
	v_mfma_f32_16x16x32_f16 v[36:39], v[224:227], a[0:3], 0    // 000000005890: D3D40024 120201E0
	ds_read_b128 a[48:51], v17 offset:49152                    // 000000005898: DBFEC000 30000011
	ds_read_b128 a[52:55], v17 offset:50176                    // 0000000058A0: DBFEC400 34000011
	v_mfma_f32_16x16x32_f16 v[36:39], v[228:231], a[4:7], v[36:39]// 0000000058A8: D3D40024 149209E4
	v_add_u32_e32 v7, s66, v7                                  // 0000000058B0: 680E0E42
	v_add_u32_e32 v8, s66, v8                                  // 0000000058B4: 68101042
	v_mfma_f32_16x16x32_f16 v[36:39], v[232:235], a[8:11], v[36:39]// 0000000058B8: D3D40024 149211E8
	ds_read_b128 a[56:59], v17 offset:51200                    // 0000000058C0: DBFEC800 38000011
	ds_read_b128 a[60:63], v17 offset:52224                    // 0000000058C8: DBFECC00 3C000011
	v_mfma_f32_16x16x32_f16 v[36:39], v[236:239], a[12:15], v[36:39]// 0000000058D0: D3D40024 149219EC
	v_add_u32_e32 v9, s66, v9                                  // 0000000058D8: 68121242
	v_add_u32_e32 v10, s66, v10                                // 0000000058DC: 68141442
	v_mfma_f32_16x16x32_f16 v[36:39], v[240:243], a[16:19], v[36:39]// 0000000058E0: D3D40024 149221F0
	ds_read_b128 v[248:251], v17 offset:53248                  // 0000000058E8: D9FED000 F8000011
	ds_read_b128 v[252:255], v17 offset:54272                  // 0000000058F0: D9FED400 FC000011
	v_mfma_f32_16x16x32_f16 v[36:39], v[244:247], a[20:23], v[36:39]// 0000000058F8: D3D40024 149229F4
	v_mul_f32_e32 v114, s47, v114                              // 000000005900: 0AE4E42F
	v_mul_f32_e32 v115, s47, v115                              // 000000005904: 0AE6E62F
	v_mfma_f32_16x16x32_f16 v[40:43], v[224:227], a[24:27], 0  // 000000005908: D3D40028 120231E0
	ds_read_b128 v[72:75], v12 offset:18432                    // 000000005910: D9FE4800 4800000C
	ds_read_b128 v[76:79], v12 offset:19456                    // 000000005918: D9FE4C00 4C00000C
	v_mfma_f32_16x16x32_f16 v[40:43], v[228:231], a[28:31], v[40:43]// 000000005920: D3D40028 14A239E4
	v_mul_f32_e32 v116, s47, v116                              // 000000005928: 0AE8E82F
	v_mul_f32_e32 v117, s47, v117                              // 00000000592C: 0AEAEA2F
	v_mfma_f32_16x16x32_f16 v[40:43], v[232:235], a[32:35], v[40:43]// 000000005930: D3D40028 14A241E8
	ds_read_b128 v[80:83], v12 offset:20480                    // 000000005938: D9FE5000 5000000C
	ds_read_b128 v[84:87], v12 offset:21504                    // 000000005940: D9FE5400 5400000C
	v_mfma_f32_16x16x32_f16 v[40:43], v[236:239], a[36:39], v[40:43]// 000000005948: D3D40028 14A249EC
	v_mul_f32_e32 v118, s47, v118                              // 000000005950: 0AECEC2F
	v_mul_f32_e32 v119, s47, v119                              // 000000005954: 0AEEEE2F
	buffer_atomic_add_f32 v108, v7, s[32:35], 0 offen          // 000000005958: E1341000 80086C07
	s_waitcnt lgkmcnt(10)                                      // 000000005960: BF8CCA7F
	v_mfma_f32_16x16x32_f16 v[40:43], v[240:243], a[40:43], v[40:43]// 000000005964: D3D40028 14A251F0
	ds_read_b64_tr_b16 v[88:89], v13 offset:18432              // 00000000596C: D9C64800 5800000D
	ds_read_b64_tr_b16 v[90:91], v13 offset:18688              // 000000005974: D9C64900 5A00000D
	v_mfma_f32_16x16x32_f16 v[40:43], v[244:247], a[44:47], v[40:43]// 00000000597C: D3D40028 14A259F4
	v_fma_f32 v36, v36, s57, -v104                             // 000000005984: D1CB0024 85A07324
	v_fma_f32 v37, v37, s57, -v105                             // 00000000598C: D1CB0025 85A47325
	s_waitcnt lgkmcnt(10)                                      // 000000005994: BF8CCA7F
	v_mfma_f32_16x16x32_f16 v[44:47], v[224:227], a[48:51], 0  // 000000005998: D3D4002C 120261E0
	ds_read_b64_tr_b16 v[92:93], v13 offset:19456              // 0000000059A0: D9C64C00 5C00000D
	ds_read_b64_tr_b16 v[94:95], v13 offset:19712              // 0000000059A8: D9C64D00 5E00000D
	v_mfma_f32_16x16x32_f16 v[44:47], v[228:231], a[52:55], v[44:47]// 0000000059B0: D3D4002C 14B269E4
	v_fma_f32 v38, v38, s57, -v106                             // 0000000059B8: D1CB0026 85A87326
	v_fma_f32 v39, v39, s57, -v107                             // 0000000059C0: D1CB0027 85AC7327
	s_waitcnt lgkmcnt(10)                                      // 0000000059C8: BF8CCA7F
	v_mfma_f32_16x16x32_f16 v[44:47], v[232:235], a[56:59], v[44:47]// 0000000059CC: D3D4002C 14B271E8
	ds_read_b64_tr_b16 v[96:97], v13 offset:20480              // 0000000059D4: D9C65000 6000000D
	ds_read_b64_tr_b16 v[98:99], v13 offset:20736              // 0000000059DC: D9C65100 6200000D
	v_mfma_f32_16x16x32_f16 v[44:47], v[236:239], a[60:63], v[44:47]// 0000000059E4: D3D4002C 14B279EC
	v_fma_f32 v40, v40, s57, -v104                             // 0000000059EC: D1CB0028 85A07328
	v_fma_f32 v41, v41, s57, -v105                             // 0000000059F4: D1CB0029 85A47329
	buffer_atomic_add_f32 v109, v8, s[32:35], 0 offen          // 0000000059FC: E1341000 80086D08
	s_waitcnt lgkmcnt(10)                                      // 000000005A04: BF8CCA7F
	v_mfma_f32_16x16x32_f16 v[44:47], v[240:243], v[248:251], v[44:47]// 000000005A08: D3D4002C 04B3F1F0
	ds_read_b64_tr_b16 v[100:101], v13 offset:21504            // 000000005A10: D9C65400 6400000D
	ds_read_b64_tr_b16 v[102:103], v13 offset:21760            // 000000005A18: D9C65500 6600000D
	v_mfma_f32_16x16x32_f16 v[44:47], v[244:247], v[252:255], v[44:47]// 000000005A20: D3D4002C 04B3F9F4
	v_fma_f32 v42, v42, s57, -v106                             // 000000005A28: D1CB002A 85A8732A
	v_fma_f32 v43, v43, s57, -v107                             // 000000005A30: D1CB002B 85AC732B
	s_cmp_eq_i32 s90, 0                                        // 000000005A38: BF00805A
	s_cbranch_scc1 label_0724                                  // 000000005A3C: BF85008F
	s_cmp_lt_i32 s74, 12                                       // 000000005A40: BF048C4A
	s_cbranch_scc0 label_06CF                                  // 000000005A44: BF84003D
	s_lshl_b32 s60, s74, 4                                     // 000000005A48: 8E3C844A
	v_sub_i32 v32, v24, s60                                    // 000000005A4C: D29D0020 00007918
	s_mov_b32 s61, 0                                           // 000000005A54: BEBD0080
	v_add_i32 v33, v32, s61                                    // 000000005A58: D29C0021 00007B20
	v_cmp_gt_i32_e64 s[60:61], v33, 0                          // 000000005A60: D0C4003C 00010121
	v_cmp_gt_i32_e64 s[92:93], v33, 1                          // 000000005A68: D0C4005C 00010321
	v_cndmask_b32_e64 v36, v36, v127, s[60:61]                 // 000000005A70: D1000024 00F2FF24
	v_cndmask_b32_e64 v37, v37, v127, s[92:93]                 // 000000005A78: D1000025 0172FF25
	v_cmp_gt_i32_e64 s[60:61], v33, 2                          // 000000005A80: D0C4003C 00010521
	v_cmp_gt_i32_e64 s[92:93], v33, 3                          // 000000005A88: D0C4005C 00010721
	v_cndmask_b32_e64 v38, v38, v127, s[60:61]                 // 000000005A90: D1000026 00F2FF26
	v_cndmask_b32_e64 v39, v39, v127, s[92:93]                 // 000000005A98: D1000027 0172FF27
	s_mov_b32 s61, 64                                          // 000000005AA0: BEBD00C0
	v_add_i32 v33, v32, s61                                    // 000000005AA4: D29C0021 00007B20
	v_cmp_gt_i32_e64 s[60:61], v33, 0                          // 000000005AAC: D0C4003C 00010121
	v_cmp_gt_i32_e64 s[92:93], v33, 1                          // 000000005AB4: D0C4005C 00010321
	v_cndmask_b32_e64 v40, v40, v127, s[60:61]                 // 000000005ABC: D1000028 00F2FF28
	v_cndmask_b32_e64 v41, v41, v127, s[92:93]                 // 000000005AC4: D1000029 0172FF29
	v_cmp_gt_i32_e64 s[60:61], v33, 2                          // 000000005ACC: D0C4003C 00010521
	v_cmp_gt_i32_e64 s[92:93], v33, 3                          // 000000005AD4: D0C4005C 00010721
	v_cndmask_b32_e64 v42, v42, v127, s[60:61]                 // 000000005ADC: D100002A 00F2FF2A
	v_cndmask_b32_e64 v43, v43, v127, s[92:93]                 // 000000005AE4: D100002B 0172FF2B
	s_mov_b32 s61, 0x80                                        // 000000005AEC: BEBD00FF 00000080
	v_add_i32 v33, v32, s61                                    // 000000005AF4: D29C0021 00007B20
	v_cmp_gt_i32_e64 s[60:61], v33, 0                          // 000000005AFC: D0C4003C 00010121
	v_cmp_gt_i32_e64 s[92:93], v33, 1                          // 000000005B04: D0C4005C 00010321
	v_cndmask_b32_e64 v44, v44, v127, s[60:61]                 // 000000005B0C: D100002C 00F2FF2C
	v_cndmask_b32_e64 v45, v45, v127, s[92:93]                 // 000000005B14: D100002D 0172FF2D
	v_cmp_gt_i32_e64 s[60:61], v33, 2                          // 000000005B1C: D0C4003C 00010521
	v_cmp_gt_i32_e64 s[92:93], v33, 3                          // 000000005B24: D0C4005C 00010721
	v_cndmask_b32_e64 v46, v46, v127, s[60:61]                 // 000000005B2C: D100002E 00F2FF2E
	v_cndmask_b32_e64 v47, v47, v127, s[92:93]                 // 000000005B34: D100002F 0172FF2F

0000000000005b3c <label_06CF>:
	s_cmp_lt_i32 s64, 0xc0                                     // 000000005B3C: BF04FF40 000000C0
	s_cbranch_scc0 label_0724                                  // 000000005B44: BF84004D
	s_cmp_le_i32 s64, 64                                       // 000000005B48: BF05C040
	s_cbranch_scc1 label_06DB                                  // 000000005B4C: BF850007
	s_cmp_le_i32 s64, 0x80                                     // 000000005B50: BF05FF40 00000080
	s_cbranch_scc1 label_06F3                                  // 000000005B58: BF850017
	s_cmp_lt_i32 s64, 0xc0                                     // 000000005B5C: BF04FF40 000000C0
	s_cbranch_scc1 label_070B                                  // 000000005B64: BF85002C
	s_branch label_0724                                        // 000000005B68: BF820044

0000000000005b6c <label_06DB>:
	s_mov_b32 s60, 0                                           // 000000005B6C: BEBC0080
	v_and_b32_e32 v32, 15, v0                                  // 000000005B70: 2640008F
	v_add_u32_e64 v32, v32, s60                                // 000000005B74: D1340020 00007920
	v_mul_i32_i24_e64 v33, s46, 16                             // 000000005B7C: D1060021 0001202E
	v_add_u32_e32 v32, v32, v33                                // 000000005B84: 68404320
	v_cmp_lt_u32_e64 s[60:61], v32, s64                        // 000000005B88: D0C9003C 00008120
	s_nop 1                                                    // 000000005B90: BF800001
	v_cndmask_b32_e64 v36, v127, v36, s[60:61]                 // 000000005B94: D1000024 00F2497F
	v_cndmask_b32_e64 v37, v127, v37, s[60:61]                 // 000000005B9C: D1000025 00F24B7F
	v_cndmask_b32_e64 v38, v127, v38, s[60:61]                 // 000000005BA4: D1000026 00F24D7F
	v_cndmask_b32_e64 v39, v127, v39, s[60:61]                 // 000000005BAC: D1000027 00F24F7F
	s_branch label_0706                                        // 000000005BB4: BF820013

0000000000005bb8 <label_06F3>:
	s_mov_b32 s60, 64                                          // 000000005BB8: BEBC00C0
	v_and_b32_e32 v32, 15, v0                                  // 000000005BBC: 2640008F
	v_add_u32_e64 v32, v32, s60                                // 000000005BC0: D1340020 00007920
	v_mul_i32_i24_e64 v33, s46, 16                             // 000000005BC8: D1060021 0001202E
	v_add_u32_e32 v32, v32, v33                                // 000000005BD0: 68404320
	v_cmp_lt_u32_e64 s[60:61], v32, s64                        // 000000005BD4: D0C9003C 00008120
	s_nop 1                                                    // 000000005BDC: BF800001
	v_cndmask_b32_e64 v40, v127, v40, s[60:61]                 // 000000005BE0: D1000028 00F2517F
	v_cndmask_b32_e64 v41, v127, v41, s[60:61]                 // 000000005BE8: D1000029 00F2537F
	v_cndmask_b32_e64 v42, v127, v42, s[60:61]                 // 000000005BF0: D100002A 00F2557F
	v_cndmask_b32_e64 v43, v127, v43, s[60:61]                 // 000000005BF8: D100002B 00F2577F
	s_branch label_071F                                        // 000000005C00: BF820019

0000000000005c04 <label_0706>:
	v_mov_b32_e32 v40, v127                                    // 000000005C04: 7E50037F
	v_mov_b32_e32 v41, v127                                    // 000000005C08: 7E52037F
	v_mov_b32_e32 v42, v127                                    // 000000005C0C: 7E54037F
	v_mov_b32_e32 v43, v127                                    // 000000005C10: 7E56037F
	s_branch label_071F                                        // 000000005C14: BF820014

0000000000005c18 <label_070B>:
	s_mov_b32 s60, 0x80                                        // 000000005C18: BEBC00FF 00000080
	v_and_b32_e32 v32, 15, v0                                  // 000000005C20: 2640008F
	v_add_u32_e64 v32, v32, s60                                // 000000005C24: D1340020 00007920
	v_mul_i32_i24_e64 v33, s46, 16                             // 000000005C2C: D1060021 0001202E
	v_add_u32_e32 v32, v32, v33                                // 000000005C34: 68404320
	v_cmp_lt_u32_e64 s[60:61], v32, s64                        // 000000005C38: D0C9003C 00008120
	s_nop 1                                                    // 000000005C40: BF800001
	v_cndmask_b32_e64 v44, v127, v44, s[60:61]                 // 000000005C44: D100002C 00F2597F
	v_cndmask_b32_e64 v45, v127, v45, s[60:61]                 // 000000005C4C: D100002D 00F25B7F
	v_cndmask_b32_e64 v46, v127, v46, s[60:61]                 // 000000005C54: D100002E 00F25D7F
	v_cndmask_b32_e64 v47, v127, v47, s[60:61]                 // 000000005C5C: D100002F 00F25F7F
	s_branch label_0724                                        // 000000005C64: BF820005

0000000000005c68 <label_071F>:
	v_mov_b32_e32 v44, v127                                    // 000000005C68: 7E58037F
	v_mov_b32_e32 v45, v127                                    // 000000005C6C: 7E5A037F
	v_mov_b32_e32 v46, v127                                    // 000000005C70: 7E5C037F
	v_mov_b32_e32 v47, v127                                    // 000000005C74: 7E5E037F
	s_branch label_0724                                        // 000000005C78: BF820000

0000000000005c7c <label_0724>:
	s_addk_i32 s74, 0x1                                        // 000000005C7C: B74A0001
	s_waitcnt lgkmcnt(8)                                       // 000000005C80: BF8CC87F
	v_mfma_f32_16x16x32_f16 v[60:63], v[72:75], a[64:67], 0    // 000000005C84: D3D4003C 12028148
	v_exp_f32_e32 v36, v36                                     // 000000005C8C: 7E484124
	v_exp_f32_e32 v37, v37                                     // 000000005C90: 7E4A4125
	v_mfma_f32_16x16x32_f16 v[60:63], v[76:79], a[68:71], v[60:63]// 000000005C94: D3D4003C 14F2894C
	v_exp_f32_e32 v38, v38                                     // 000000005C9C: 7E4C4126
	v_exp_f32_e32 v39, v39                                     // 000000005CA0: 7E4E4127
	v_mfma_f32_16x16x32_f16 v[60:63], v[80:83], a[72:75], v[60:63]// 000000005CA4: D3D4003C 14F29150
	ds_read_b64_tr_b16 v[224:225], v13                         // 000000005CAC: D9C60000 E000000D
	ds_read_b64_tr_b16 v[226:227], v13 offset:256              // 000000005CB4: D9C60100 E200000D
	ds_read_b64_tr_b16 v[228:229], v13 offset:1024             // 000000005CBC: D9C60400 E400000D
	ds_read_b64_tr_b16 v[230:231], v13 offset:1280             // 000000005CC4: D9C60500 E600000D
	v_mfma_f32_16x16x32_f16 v[60:63], v[84:87], a[76:79], v[60:63]// 000000005CCC: D3D4003C 14F29954
	v_fma_f32 v44, v44, s57, -v104                             // 000000005CD4: D1CB002C 85A0732C
	v_fma_f32 v45, v45, s57, -v105                             // 000000005CDC: D1CB002D 85A4732D
	v_exp_f32_e32 v40, v40                                     // 000000005CE4: 7E504128
	v_exp_f32_e32 v41, v41                                     // 000000005CE8: 7E524129
	buffer_atomic_add_f32 v110, v9, s[32:35], 0 offen          // 000000005CEC: E1341000 80086E09
	v_mfma_f32_16x16x32_f16 v[64:67], v[72:75], a[80:83], 0    // 000000005CF4: D3D40040 1202A148
	ds_read_b64_tr_b16 v[232:233], v13 offset:2048             // 000000005CFC: D9C60800 E800000D
	ds_read_b64_tr_b16 v[234:235], v13 offset:2304             // 000000005D04: D9C60900 EA00000D
	ds_read_b64_tr_b16 v[236:237], v13 offset:3072             // 000000005D0C: D9C60C00 EC00000D
	ds_read_b64_tr_b16 v[238:239], v13 offset:3328             // 000000005D14: D9C60D00 EE00000D
	v_mfma_f32_16x16x32_f16 v[64:67], v[76:79], a[84:87], v[64:67]// 000000005D1C: D3D40040 1502A94C
	v_fma_f32 v46, v46, s57, -v106                             // 000000005D24: D1CB002E 85A8732E
	v_fma_f32 v47, v47, s57, -v107                             // 000000005D2C: D1CB002F 85AC732F
	v_exp_f32_e32 v42, v42                                     // 000000005D34: 7E54412A
	v_exp_f32_e32 v43, v43                                     // 000000005D38: 7E56412B
	v_mfma_f32_16x16x32_f16 v[64:67], v[80:83], a[88:91], v[64:67]// 000000005D3C: D3D40040 1502B150
	v_exp_f32_e32 v44, v44                                     // 000000005D44: 7E58412C
	v_exp_f32_e32 v45, v45                                     // 000000005D48: 7E5A412D
	v_mfma_f32_16x16x32_f16 v[64:67], v[84:87], a[92:95], v[64:67]// 000000005D4C: D3D40040 1502B954
	v_cvt_pk_f16_f32 v120, v36, v37                            // 000000005D54: D2670078 00024B24
	v_cvt_pk_f16_f32 v121, v38, v39                            // 000000005D5C: D2670079 00024F26
	v_cvt_pk_f16_f32 v122, v40, v41                            // 000000005D64: D267007A 00025328
	v_cvt_pk_f16_f32 v123, v42, v43                            // 000000005D6C: D267007B 0002572A
	v_mfma_f32_16x16x32_f16 v[68:71], v[72:75], a[96:99], 0    // 000000005D74: D3D40044 1202C148
	v_exp_f32_e32 v46, v46                                     // 000000005D7C: 7E5C412E
	v_exp_f32_e32 v47, v47                                     // 000000005D80: 7E5E412F
	v_mfma_f32_16x16x32_f16 v[68:71], v[76:79], a[100:103], v[68:71]// 000000005D84: D3D40044 1512C94C
	v_permlane16_swap_b32_e32 v120, v122                       // 000000005D8C: 7EF0B37A
	v_permlane16_swap_b32_e32 v121, v123                       // 000000005D90: 7EF2B37B
	v_mfma_f32_16x16x32_f16 v[68:71], v[80:83], a[104:107], v[68:71]// 000000005D94: D3D40044 1512D150
	ds_read_b64_tr_b16 v[240:241], v13 offset:4096             // 000000005D9C: D9C61000 F000000D
	ds_read_b64_tr_b16 v[242:243], v13 offset:4352             // 000000005DA4: D9C61100 F200000D
	ds_read_b64_tr_b16 v[244:245], v13 offset:5120             // 000000005DAC: D9C61400 F400000D
	ds_read_b64_tr_b16 v[246:247], v13 offset:5376             // 000000005DB4: D9C61500 F600000D
	v_mfma_f32_16x16x32_f16 v[68:71], v[84:87], a[108:111], v[68:71]// 000000005DBC: D3D40044 1512D954
	v_cvt_pk_f16_f32 v124, v44, v45                            // 000000005DC4: D267007C 00025B2C
	v_cvt_pk_f16_f32 v125, v46, v47                            // 000000005DCC: D267007D 00025F2E
	buffer_atomic_add_f32 v111, v10, s[32:35], 0 offen         // 000000005DD4: E1341000 80086F0A
	s_waitcnt lgkmcnt(12)                                      // 000000005DDC: BF8CCC7F
	v_mfma_f32_32x32x16_f16 v[128:143], v[88:91], v[120:123], v[128:143]// 000000005DE0: D3D50080 0602F158
	ds_read_b64_tr_b16 a[0:1], v19                             // 000000005DE8: DBC60000 00000013
	ds_read_b64_tr_b16 a[2:3], v19 offset:256                  // 000000005DF0: DBC60100 02000013
	ds_read_b64_tr_b16 a[4:5], v19 offset:12288                // 000000005DF8: DBC63000 04000013
	ds_read_b64_tr_b16 a[6:7], v19 offset:12544                // 000000005E00: DBC63100 06000013
	ds_read_b64_tr_b16 a[8:9], v19 offset:24576                // 000000005E08: DBC66000 08000013
	buffer_atomic_add_f32 v112, v7, s[32:35], 0 offen offset:64// 000000005E10: E1341040 80087007
	v_mfma_f32_32x32x16_f16 v[144:159], v[92:95], v[120:123], v[144:159]// 000000005E18: D3D50090 0642F15C
	v_subrev_f32_dpp v60, v126, v60 quad_perm:[0,0,0,0] row_mask:0xf bank_mask:0xf// 000000005E20: 067878FA FF00007E
	v_subrev_f32_dpp v61, v126, v61 quad_perm:[1,1,1,1] row_mask:0xf bank_mask:0xf// 000000005E28: 067A7AFA FF00557E
	v_subrev_f32_dpp v62, v126, v62 quad_perm:[2,2,2,2] row_mask:0xf bank_mask:0xf// 000000005E30: 067C7CFA FF00AA7E
	v_subrev_f32_dpp v63, v126, v63 quad_perm:[3,3,3,3] row_mask:0xf bank_mask:0xf// 000000005E38: 067E7EFA FF00FF7E
	v_subrev_f32_dpp v64, v126, v64 quad_perm:[0,0,0,0] row_mask:0xf bank_mask:0xf// 000000005E40: 068080FA FF00007E
	v_subrev_f32_dpp v65, v126, v65 quad_perm:[1,1,1,1] row_mask:0xf bank_mask:0xf// 000000005E48: 068282FA FF00557E
	v_subrev_f32_dpp v66, v126, v66 quad_perm:[2,2,2,2] row_mask:0xf bank_mask:0xf// 000000005E50: 068484FA FF00AA7E
	v_subrev_f32_dpp v67, v126, v67 quad_perm:[3,3,3,3] row_mask:0xf bank_mask:0xf// 000000005E58: 068686FA FF00FF7E
	v_mul_f32_e32 v60, v36, v60                                // 000000005E60: 0A787924
	v_mul_f32_e32 v61, v37, v61                                // 000000005E64: 0A7A7B25
	v_mul_f32_e32 v62, v38, v62                                // 000000005E68: 0A7C7D26
	v_mul_f32_e32 v63, v39, v63                                // 000000005E6C: 0A7E7F27
	v_mfma_f32_32x32x16_f16 v[160:175], v[96:99], v[120:123], v[160:175]// 000000005E70: D3D500A0 0682F160
	ds_read_b64_tr_b16 a[10:11], v19 offset:24832              // 000000005E78: DBC66100 0A000013
	ds_read_b64_tr_b16 a[12:13], v19 offset:36864              // 000000005E80: DBC69000 0C000013
	ds_read_b64_tr_b16 a[14:15], v19 offset:37120              // 000000005E88: DBC69100 0E000013
	ds_read_b64_tr_b16 a[16:17], v19 offset:49152              // 000000005E90: DBC6C000 10000013
	ds_read_b64_tr_b16 a[18:19], v19 offset:49408              // 000000005E98: DBC6C100 12000013
	ds_read_b32 v104, v16 offset:38144                         // 000000005EA0: D86C9500 68000010
	v_mfma_f32_32x32x16_f16 v[176:191], v[100:103], v[120:123], v[176:191]// 000000005EA8: D3D500B0 06C2F164
	v_mul_f32_e32 v64, v40, v64                                // 000000005EB0: 0A808128
	v_mul_f32_e32 v65, v41, v65                                // 000000005EB4: 0A828329
	v_mul_f32_e32 v66, v42, v66                                // 000000005EB8: 0A84852A
	v_mul_f32_e32 v67, v43, v67                                // 000000005EBC: 0A86872B
	v_permlane16_swap_b32_e32 v88, v90                         // 000000005EC0: 7EB0B35A
	v_permlane16_swap_b32_e32 v89, v91                         // 000000005EC4: 7EB2B35B
	v_cvt_pk_f16_f32 v60, v60, v61                             // 000000005EC8: D267003C 00027B3C
	v_cvt_pk_f16_f32 v61, v62, v63                             // 000000005ED0: D267003D 00027F3E
	v_cvt_pk_f16_f32 v62, v64, v65                             // 000000005ED8: D267003E 00028340
	v_cvt_pk_f16_f32 v63, v66, v67                             // 000000005EE0: D267003F 00028742
	v_permlane16_swap_b32_e32 v92, v94                         // 000000005EE8: 7EB8B35E
	v_permlane16_swap_b32_e32 v93, v95                         // 000000005EEC: 7EBAB35F
	v_mfma_f32_16x16x16_f16 v[192:195], v[88:89], v[124:125], v[192:195]// 000000005EF0: D3CD00C0 0702F958
	buffer_atomic_add_f32 v113, v8, s[32:35], 0 offen offset:64// 000000005EF8: E1341040 80087108
	ds_write_b64 v15, v[60:61] offset:30720                    // 000000005F00: D89A7800 00003C0F
	ds_write_b64 v15, v[62:63] offset:33024                    // 000000005F08: D89A8100 00003E0F
	v_mfma_f32_16x16x16_f16 v[196:199], v[90:91], v[124:125], v[196:199]// 000000005F10: D3CD00C4 0712F95A
	v_permlane16_swap_b32_e32 v96, v98                         // 000000005F18: 7EC0B362
	v_permlane16_swap_b32_e32 v97, v99                         // 000000005F1C: 7EC2B363
	v_subrev_f32_dpp v68, v126, v68 quad_perm:[0,0,0,0] row_mask:0xf bank_mask:0xf// 000000005F20: 068888FA FF00007E
	v_subrev_f32_dpp v69, v126, v69 quad_perm:[1,1,1,1] row_mask:0xf bank_mask:0xf// 000000005F28: 068A8AFA FF00557E
	v_mfma_f32_16x16x16_f16 v[200:203], v[92:93], v[124:125], v[200:203]// 000000005F30: D3CD00C8 0722F95C
	v_permlane16_swap_b32_e32 v100, v102                       // 000000005F38: 7EC8B366
	v_permlane16_swap_b32_e32 v101, v103                       // 000000005F3C: 7ECAB367
	v_subrev_f32_dpp v70, v126, v70 quad_perm:[2,2,2,2] row_mask:0xf bank_mask:0xf// 000000005F40: 068C8CFA FF00AA7E
	v_subrev_f32_dpp v71, v126, v71 quad_perm:[3,3,3,3] row_mask:0xf bank_mask:0xf// 000000005F48: 068E8EFA FF00FF7E
	v_mfma_f32_16x16x16_f16 v[204:207], v[94:95], v[124:125], v[204:207]// 000000005F50: D3CD00CC 0732F95E
	v_permlane16_swap_b32_e32 v60, v62                         // 000000005F58: 7E78B33E
	v_permlane16_swap_b32_e32 v61, v63                         // 000000005F5C: 7E7AB33F
	v_mfma_f32_16x16x16_f16 v[208:211], v[96:97], v[124:125], v[208:211]// 000000005F60: D3CD00D0 0742F960
	ds_read_b64_tr_b16 a[20:21], v19 offset:61440              // 000000005F68: DBC6F000 14000013
	ds_read_b64_tr_b16 a[22:23], v19 offset:61696              // 000000005F70: DBC6F100 16000013
	ds_read_b64_tr_b16 a[24:25], v20                           // 000000005F78: DBC60000 18000014
	v_mfma_f32_16x16x16_f16 v[212:215], v[98:99], v[124:125], v[212:215]// 000000005F80: D3CD00D4 0752F962
	v_mul_f32_e32 v68, v44, v68                                // 000000005F88: 0A88892C
	v_mul_f32_e32 v69, v45, v69                                // 000000005F8C: 0A8A8B2D
	v_mul_f32_e32 v70, v46, v70                                // 000000005F90: 0A8C8D2E
	v_mfma_f32_16x16x16_f16 v[216:219], v[100:101], v[124:125], v[216:219]// 000000005F94: D3CD00D8 0762F964
	ds_read_b32 v126, v16 offset:38400                         // 000000005F9C: D86C9600 7E000010
	ds_read_b64_tr_b16 a[26:27], v20 offset:256                // 000000005FA4: DBC60100 1A000014
	ds_read_b64_tr_b16 a[28:29], v20 offset:12288              // 000000005FAC: DBC63000 1C000014
	v_mfma_f32_16x16x16_f16 v[220:223], v[102:103], v[124:125], v[220:223]// 000000005FB4: D3CD00DC 0772F966
	v_mul_f32_e32 v71, v47, v71                                // 000000005FBC: 0A8E8F2F
	v_cvt_pk_f16_f32 v64, v68, v69                             // 000000005FC0: D2670040 00028B44
	v_cvt_pk_f16_f32 v65, v70, v71                             // 000000005FC8: D2670041 00028F46
	s_waitcnt lgkmcnt(8)                                       // 000000005FD0: BF8CC87F
	v_mfma_f32_32x32x16_f16 a[112:127], v[224:227], v[60:63], a[112:127]// 000000005FD4: D3D58070 05C279E0
	ds_read_b64_tr_b16 a[30:31], v20 offset:12544              // 000000005FDC: DBC63100 1E000014
	ds_write_b64 v15, v[64:65] offset:35328                    // 000000005FE4: D89A8A00 0000400F
	ds_read_b64_tr_b16 a[32:33], v20 offset:24576              // 000000005FEC: DBC66000 20000014
	ds_read_b64_tr_b16 a[34:35], v20 offset:24832              // 000000005FF4: DBC66100 22000014
	v_mfma_f32_32x32x16_f16 a[128:143], v[228:231], v[60:63], a[128:143]// 000000005FFC: D3D58080 060279E4
	v_mul_f32_e32 v104, s48, v104                              // 000000006004: 0AD0D030
	buffer_atomic_add_f32 v114, v9, s[32:35], 0 offen offset:64// 000000006008: E1341040 80087209
	v_mfma_f32_32x32x16_f16 a[144:159], v[232:235], v[60:63], a[144:159]// 000000006010: D3D58090 064279E8
	ds_read_b64_tr_b16 a[36:37], v20 offset:36864              // 000000006018: DBC69000 24000014
	ds_read_b64_tr_b16 a[38:39], v20 offset:37120              // 000000006020: DBC69100 26000014
	ds_read_b64_tr_b16 a[40:41], v20 offset:49152              // 000000006028: DBC6C000 28000014
	ds_read_b64_tr_b16 a[42:43], v20 offset:49408              // 000000006030: DBC6C100 2A000014
	ds_read_b64_tr_b16 a[44:45], v20 offset:61440              // 000000006038: DBC6F000 2C000014
	ds_read_b64_tr_b16 a[46:47], v20 offset:61696              // 000000006040: DBC6F100 2E000014
	v_mfma_f32_32x32x16_f16 a[160:175], v[236:239], v[60:63], a[160:175]// 000000006048: D3D580A0 068279EC
	.long 0x7fc0b3e2                                           // 000000006050: 7FC0B3E2
	.long 0x7fc2b3e3                                           // 000000006054: 7FC2B3E3
	buffer_atomic_add_f32 v115, v10, s[32:35], 0 offen offset:64// 000000006058: E1341040 8008730A
	s_waitcnt lgkmcnt(8)                                       // 000000006060: BF8CC87F
	s_barrier                                                  // 000000006064: BF8A0000
	v_mfma_f32_32x32x16_f16 a[176:191], v[240:243], v[60:63], a[176:191]// 000000006068: D3D580B0 06C279F0
	ds_read_b64_tr_b16 v[36:37], v14 offset:30720              // 000000006070: D9C67800 2400000E
	ds_read_b64_tr_b16 v[38:39], v14 offset:30752              // 000000006078: D9C67820 2600000E
	ds_read_b64_tr_b16 v[40:41], v14 offset:31872              // 000000006080: D9C67C80 2800000E
	ds_read_b64_tr_b16 v[42:43], v14 offset:31904              // 000000006088: D9C67CA0 2A00000E
	ds_read_b64_tr_b16 v[44:45], v14 offset:33024              // 000000006090: D9C68100 2C00000E
	ds_read_b64_tr_b16 v[46:47], v14 offset:33056              // 000000006098: D9C68120 2E00000E
	v_mfma_f32_32x32x16_f16 a[192:207], v[244:247], v[60:63], a[192:207]// 0000000060A0: D3D580C0 070279F4
	.long 0x7fc8b3e6                                           // 0000000060A8: 7FC8B3E6
	.long 0x7fcab3e7                                           // 0000000060AC: 7FCAB3E7
	v_mov_b32_dpp v107, v104 quad_perm:[3,3,3,3] row_mask:0xf bank_mask:0xf// 0000000060B0: 7ED602FA FF00FF68
	v_mov_b32_dpp v106, v104 quad_perm:[2,2,2,2] row_mask:0xf bank_mask:0xf// 0000000060B8: 7ED402FA FF00AA68
	buffer_atomic_add_f32 v116, v7, s[32:35], 0 offen offset:128// 0000000060C0: E1341080 80087407
	v_mfma_f32_16x16x16_f16 a[208:211], v[224:225], v[64:65], a[208:211]// 0000000060C8: D3CD80D0 074281E0
	ds_read_b64_tr_b16 v[48:49], v14 offset:34176              // 0000000060D0: D9C68580 3000000E
	ds_read_b64_tr_b16 v[50:51], v14 offset:34208              // 0000000060D8: D9C685A0 3200000E
	ds_read_b64_tr_b16 v[52:53], v14 offset:35328              // 0000000060E0: D9C68A00 3400000E
	v_mfma_f32_16x16x16_f16 a[212:215], v[226:227], v[64:65], a[212:215]// 0000000060E8: D3CD80D4 075281E2
	.long 0x7fd0b3ea                                           // 0000000060F0: 7FD0B3EA
	.long 0x7fd2b3eb                                           // 0000000060F4: 7FD2B3EB
	v_mfma_f32_16x16x16_f16 a[216:219], v[228:229], v[64:65], a[216:219]// 0000000060F8: D3CD80D8 076281E4
	ds_read_b64_tr_b16 v[54:55], v14 offset:35360              // 000000006100: D9C68A20 3600000E
	ds_read_b64_tr_b16 v[56:57], v14 offset:36480              // 000000006108: D9C68E80 3800000E
	ds_read_b64_tr_b16 v[58:59], v14 offset:36512              // 000000006110: D9C68EA0 3A00000E
	v_mfma_f32_16x16x16_f16 a[220:223], v[230:231], v[64:65], a[220:223]// 000000006118: D3CD80DC 077281E6
	v_permlane16_swap_b32_e32 v236, v238                       // 000000006120: 7FD8B3EE
	v_permlane16_swap_b32_e32 v237, v239                       // 000000006124: 7FDAB3EF
	buffer_atomic_add_f32 v117, v8, s[32:35], 0 offen offset:128// 000000006128: E1341080 80087508
	v_mfma_f32_16x16x16_f16 a[224:227], v[232:233], v[64:65], a[224:227]// 000000006130: D3CD80E0 078281E8
	ds_read_b64_tr_b16 a[48:49], v21                           // 000000006138: DBC60000 30000015
	ds_read_b64_tr_b16 a[50:51], v21 offset:256                // 000000006140: DBC60100 32000015
	ds_read_b64_tr_b16 a[52:53], v21 offset:12288              // 000000006148: DBC63000 34000015
	v_mfma_f32_16x16x16_f16 a[228:231], v[234:235], v[64:65], a[228:231]// 000000006150: D3CD80E4 079281EA
	v_permlane16_swap_b32_e32 v240, v242                       // 000000006158: 7FE0B3F2
	v_permlane16_swap_b32_e32 v241, v243                       // 00000000615C: 7FE2B3F3
	v_mfma_f32_16x16x16_f16 a[232:235], v[236:237], v[64:65], a[232:235]// 000000006160: D3CD80E8 07A281EC
	ds_read_b64_tr_b16 a[54:55], v21 offset:12544              // 000000006168: DBC63100 36000015
	ds_read_b64_tr_b16 a[56:57], v21 offset:24576              // 000000006170: DBC66000 38000015
	ds_read_b64_tr_b16 a[58:59], v21 offset:24832              // 000000006178: DBC66100 3A000015
	v_mfma_f32_16x16x16_f16 a[236:239], v[238:239], v[64:65], a[236:239]// 000000006180: D3CD80EC 07B281EE
	v_permlane16_swap_b32_e32 v244, v246                       // 000000006188: 7FE8B3F6
	v_permlane16_swap_b32_e32 v245, v247                       // 00000000618C: 7FEAB3F7
	v_mfma_f32_16x16x16_f16 a[240:243], v[240:241], v[64:65], a[240:243]// 000000006190: D3CD80F0 07C281F0
	ds_read_b64_tr_b16 a[60:61], v21 offset:36864              // 000000006198: DBC69000 3C000015
	ds_read_b64_tr_b16 a[62:63], v21 offset:37120              // 0000000061A0: DBC69100 3E000015
	ds_read_b64_tr_b16 v[248:249], v21 offset:49152            // 0000000061A8: D9C6C000 F8000015
	v_mfma_f32_16x16x16_f16 a[244:247], v[242:243], v[64:65], a[244:247]// 0000000061B0: D3CD80F4 07D281F2
	v_mov_b32_dpp v105, v104 quad_perm:[1,1,1,1] row_mask:0xf bank_mask:0xf// 0000000061B8: 7ED202FA FF005568
	buffer_atomic_add_f32 v118, v9, s[32:35], 0 offen offset:128// 0000000061C0: E1341080 80087609
	v_mfma_f32_16x16x16_f16 a[248:251], v[244:245], v[64:65], a[248:251]// 0000000061C8: D3CD80F8 07E281F4
	ds_read_b64_tr_b16 v[250:251], v21 offset:49408            // 0000000061D0: D9C6C100 FA000015
	ds_read_b64_tr_b16 v[252:253], v21 offset:61440            // 0000000061D8: D9C6F000 FC000015
	ds_read_b64_tr_b16 v[254:255], v21 offset:61696            // 0000000061E0: D9C6F100 FE000015
	v_mfma_f32_16x16x16_f16 a[252:255], v[246:247], v[64:65], a[252:255]// 0000000061E8: D3CD80FC 07F281F6
	v_mov_b32_dpp v104, v104 quad_perm:[0,0,0,0] row_mask:0xf bank_mask:0xf// 0000000061F0: 7ED002FA FF000068
	buffer_atomic_add_f32 v119, v10, s[32:35], 0 offen offset:128// 0000000061F8: E1341080 8008770A
	s_waitcnt vmcnt(12) lgkmcnt(6)                             // 000000006200: BF8C067C
	s_barrier                                                  // 000000006204: BF8A0000
	v_mfma_f32_16x16x32_f16 v[108:111], v[36:39], a[0:3], 0    // 000000006208: D3D4006C 12020124
	ds_read_b128 v[224:227], v12 offset:6144                   // 000000006210: D9FE1800 E000000C
	ds_read_b128 v[228:231], v12 offset:7168                   // 000000006218: D9FE1C00 E400000C
	v_mfma_f32_16x16x32_f16 v[108:111], v[40:43], a[4:7], v[108:111]// 000000006220: D3D4006C 15B20928
	s_mov_b32 m0, s81                                          // 000000006228: BEFC0051
	buffer_load_dwordx4 v1, s[8:11], 0 idxen lds               // 00000000622C: E05D2000 80020001
	v_mfma_f32_16x16x32_f16 v[108:111], v[44:47], a[8:11], v[108:111]// 000000006234: D3D4006C 15B2112C
	ds_read_b128 v[232:235], v12 offset:8192                   // 00000000623C: D9FE2000 E800000C
	ds_read_b128 v[236:239], v12 offset:9216                   // 000000006244: D9FE2400 EC00000C
	v_mfma_f32_16x16x32_f16 v[108:111], v[48:51], a[12:15], v[108:111]// 00000000624C: D3D4006C 15B21930
	s_mov_b32 m0, s82                                          // 000000006254: BEFC0052
	buffer_load_dword v2, s[8:11], 0 idxen lds                 // 000000006258: E0512000 80020002
	v_mfma_f32_16x16x32_f16 v[108:111], v[52:55], a[16:19], v[108:111]// 000000006260: D3D4006C 15B22134
	ds_read_b128 v[240:243], v12 offset:10240                  // 000000006268: D9FE2800 F000000C
	ds_read_b128 v[244:247], v12 offset:11264                  // 000000006270: D9FE2C00 F400000C
	v_mfma_f32_16x16x32_f16 v[108:111], v[56:59], a[20:23], v[108:111]// 000000006278: D3D4006C 15B22938
	s_mov_b32 m0, s83                                          // 000000006280: BEFC0053
	buffer_load_dword v3, s[8:11], 0 idxen lds                 // 000000006284: E0512000 80020003
	v_mfma_f32_16x16x32_f16 v[112:115], v[36:39], a[24:27], 0  // 00000000628C: D3D40070 12023124
	ds_read_b128 a[0:3], v17                                   // 000000006294: DBFE0000 00000011
	ds_read_b128 a[4:7], v17 offset:1024                       // 00000000629C: DBFE0400 04000011
	v_mfma_f32_16x16x32_f16 v[112:115], v[40:43], a[28:31], v[112:115]// 0000000062A4: D3D40070 15C23928
	s_mov_b32 m0, s99                                          // 0000000062AC: BEFC0063
	buffer_load_dwordx4 v4, s[20:23], 0 idxen lds              // 0000000062B0: E05D2000 80050004
	v_mfma_f32_16x16x32_f16 v[112:115], v[44:47], a[32:35], v[112:115]// 0000000062B8: D3D40070 15C2412C
	ds_read_b128 a[8:11], v17 offset:2048                      // 0000000062C0: DBFE0800 08000011
	ds_read_b128 a[12:15], v17 offset:3072                     // 0000000062C8: DBFE0C00 0C000011
	v_mfma_f32_16x16x32_f16 v[112:115], v[48:51], a[36:39], v[112:115]// 0000000062D0: D3D40070 15C24930
	v_mul_f32_e32 v108, s47, v108                              // 0000000062D8: 0AD8D82F
	v_mul_f32_e32 v109, s47, v109                              // 0000000062DC: 0ADADA2F
	s_mov_b32 m0, s78                                          // 0000000062E0: BEFC004E
	buffer_load_dword v11, s[24:27], 0 idxen lds               // 0000000062E4: E0512000 8006000B
	v_mfma_f32_16x16x32_f16 v[112:115], v[52:55], a[40:43], v[112:115]// 0000000062EC: D3D40070 15C25134
	ds_read_b128 a[16:19], v17 offset:4096                     // 0000000062F4: DBFE1000 10000011
	ds_read_b128 a[20:23], v17 offset:5120                     // 0000000062FC: DBFE1400 14000011
	v_mfma_f32_16x16x32_f16 v[112:115], v[56:59], a[44:47], v[112:115]// 000000006304: D3D40070 15C25938
	s_add_u32 s60, 64, s59                                     // 00000000630C: 803C3BC0
	s_cmp_lt_u32 s60, s58                                      // 000000006310: BF0A3A3C
	s_cselect_b32 s68, s68, 0                                  // 000000006314: 85448044
	s_cselect_b32 s98, s98, 0                                  // 000000006318: 85628062
	s_cselect_b32 s69, s69, 0                                  // 00000000631C: 85458045
	v_mfma_f32_16x16x32_f16 v[116:119], v[36:39], a[48:51], 0  // 000000006320: D3D40074 12026124
	ds_read_b128 a[24:27], v17 offset:24576                    // 000000006328: DBFE6000 18000011
	ds_read_b128 a[28:31], v17 offset:25600                    // 000000006330: DBFE6400 1C000011
	v_mfma_f32_16x16x32_f16 v[116:119], v[40:43], a[52:55], v[116:119]// 000000006338: D3D40074 15D26928
	v_add_u32_e32 v1, s68, v1                                  // 000000006340: 68020244
	v_add_u32_e32 v2, s68, v2                                  // 000000006344: 68040444
	;; [unrolled: 1-line block ×3, first 2 shown]
	v_add_u32_e32 v4, s98, v4                                  // 00000000634C: 68080862
	v_add_u32_e32 v11, s69, v11                                // 000000006350: 68161645
	s_waitcnt lgkmcnt(14)                                      // 000000006354: BF8CCE7F
	v_mfma_f32_16x16x32_f16 v[116:119], v[44:47], a[56:59], v[116:119]// 000000006358: D3D40074 15D2712C
	ds_read_b128 a[32:35], v17 offset:26624                    // 000000006360: DBFE6800 20000011
	ds_read_b128 a[36:39], v17 offset:27648                    // 000000006368: DBFE6C00 24000011
	v_mfma_f32_16x16x32_f16 v[116:119], v[48:51], a[60:63], v[116:119]// 000000006370: D3D40074 15D27930
	v_mul_f32_e32 v110, s47, v110                              // 000000006378: 0ADCDC2F
	v_mul_f32_e32 v111, s47, v111                              // 00000000637C: 0ADEDE2F
	s_cmp_ge_u32 s59, s73                                      // 000000006380: BF09493B
	s_cselect_b32 s66, s67, s66                                // 000000006384: 85424243
	v_mfma_f32_16x16x32_f16 v[116:119], v[52:55], v[248:251], v[116:119]// 000000006388: D3D40074 05D3F134
	ds_read_b128 a[40:43], v17 offset:28672                    // 000000006390: DBFE7000 28000011
	ds_read_b128 a[44:47], v17 offset:29696                    // 000000006398: DBFE7400 2C000011
	v_mfma_f32_16x16x32_f16 v[116:119], v[56:59], v[252:255], v[116:119]// 0000000063A0: D3D40074 05D3F938
	s_addk_i32 s59, 0x10                                       // 0000000063A8: B73B0010
	v_mul_f32_e32 v112, s47, v112                              // 0000000063AC: 0AE0E02F
	v_mul_f32_e32 v113, s47, v113                              // 0000000063B0: 0AE2E22F
	s_cmp_lt_i32 s59, s58                                      // 0000000063B4: BF043A3B
	s_cbranch_scc0 label_0E97                                  // 0000000063B8: BF840599
	s_waitcnt lgkmcnt(2)                                       // 0000000063BC: BF8CC27F
	v_mfma_f32_16x16x32_f16 v[36:39], v[224:227], a[0:3], 0    // 0000000063C0: D3D40024 120201E0
	ds_read_b128 a[48:51], v17 offset:49152                    // 0000000063C8: DBFEC000 30000011
	ds_read_b128 a[52:55], v17 offset:50176                    // 0000000063D0: DBFEC400 34000011
	v_mfma_f32_16x16x32_f16 v[36:39], v[228:231], a[4:7], v[36:39]// 0000000063D8: D3D40024 149209E4
	v_add_u32_e32 v7, s66, v7                                  // 0000000063E0: 680E0E42
	v_add_u32_e32 v8, s66, v8                                  // 0000000063E4: 68101042
	v_mfma_f32_16x16x32_f16 v[36:39], v[232:235], a[8:11], v[36:39]// 0000000063E8: D3D40024 149211E8
	ds_read_b128 a[56:59], v17 offset:51200                    // 0000000063F0: DBFEC800 38000011
	ds_read_b128 a[60:63], v17 offset:52224                    // 0000000063F8: DBFECC00 3C000011
	v_mfma_f32_16x16x32_f16 v[36:39], v[236:239], a[12:15], v[36:39]// 000000006400: D3D40024 149219EC
	v_add_u32_e32 v9, s66, v9                                  // 000000006408: 68121242
	v_add_u32_e32 v10, s66, v10                                // 00000000640C: 68141442
	v_mfma_f32_16x16x32_f16 v[36:39], v[240:243], a[16:19], v[36:39]// 000000006410: D3D40024 149221F0
	ds_read_b128 v[248:251], v17 offset:53248                  // 000000006418: D9FED000 F8000011
	ds_read_b128 v[252:255], v17 offset:54272                  // 000000006420: D9FED400 FC000011
	v_mfma_f32_16x16x32_f16 v[36:39], v[244:247], a[20:23], v[36:39]// 000000006428: D3D40024 149229F4
	v_mul_f32_e32 v114, s47, v114                              // 000000006430: 0AE4E42F
	v_mul_f32_e32 v115, s47, v115                              // 000000006434: 0AE6E62F
	v_mfma_f32_16x16x32_f16 v[40:43], v[224:227], a[24:27], 0  // 000000006438: D3D40028 120231E0
	ds_read_b128 v[72:75], v12 offset:22528                    // 000000006440: D9FE5800 4800000C
	ds_read_b128 v[76:79], v12 offset:23552                    // 000000006448: D9FE5C00 4C00000C
	v_mfma_f32_16x16x32_f16 v[40:43], v[228:231], a[28:31], v[40:43]// 000000006450: D3D40028 14A239E4
	v_mul_f32_e32 v116, s47, v116                              // 000000006458: 0AE8E82F
	v_mul_f32_e32 v117, s47, v117                              // 00000000645C: 0AEAEA2F
	v_mfma_f32_16x16x32_f16 v[40:43], v[232:235], a[32:35], v[40:43]// 000000006460: D3D40028 14A241E8
	ds_read_b128 v[80:83], v12 offset:24576                    // 000000006468: D9FE6000 5000000C
	ds_read_b128 v[84:87], v12 offset:25600                    // 000000006470: D9FE6400 5400000C
	v_mfma_f32_16x16x32_f16 v[40:43], v[236:239], a[36:39], v[40:43]// 000000006478: D3D40028 14A249EC
	v_mul_f32_e32 v118, s47, v118                              // 000000006480: 0AECEC2F
	v_mul_f32_e32 v119, s47, v119                              // 000000006484: 0AEEEE2F
	buffer_atomic_add_f32 v108, v7, s[32:35], 0 offen          // 000000006488: E1341000 80086C07
	s_waitcnt lgkmcnt(10)                                      // 000000006490: BF8CCA7F
	v_mfma_f32_16x16x32_f16 v[40:43], v[240:243], a[40:43], v[40:43]// 000000006494: D3D40028 14A251F0
	ds_read_b64_tr_b16 v[88:89], v13 offset:22528              // 00000000649C: D9C65800 5800000D
	ds_read_b64_tr_b16 v[90:91], v13 offset:22784              // 0000000064A4: D9C65900 5A00000D
	v_mfma_f32_16x16x32_f16 v[40:43], v[244:247], a[44:47], v[40:43]// 0000000064AC: D3D40028 14A259F4
	v_fma_f32 v36, v36, s57, -v104                             // 0000000064B4: D1CB0024 85A07324
	v_fma_f32 v37, v37, s57, -v105                             // 0000000064BC: D1CB0025 85A47325
	s_waitcnt lgkmcnt(10)                                      // 0000000064C4: BF8CCA7F
	v_mfma_f32_16x16x32_f16 v[44:47], v[224:227], a[48:51], 0  // 0000000064C8: D3D4002C 120261E0
	ds_read_b64_tr_b16 v[92:93], v13 offset:23552              // 0000000064D0: D9C65C00 5C00000D
	ds_read_b64_tr_b16 v[94:95], v13 offset:23808              // 0000000064D8: D9C65D00 5E00000D
	v_mfma_f32_16x16x32_f16 v[44:47], v[228:231], a[52:55], v[44:47]// 0000000064E0: D3D4002C 14B269E4
	v_fma_f32 v38, v38, s57, -v106                             // 0000000064E8: D1CB0026 85A87326
	v_fma_f32 v39, v39, s57, -v107                             // 0000000064F0: D1CB0027 85AC7327
	s_waitcnt lgkmcnt(10)                                      // 0000000064F8: BF8CCA7F
	v_mfma_f32_16x16x32_f16 v[44:47], v[232:235], a[56:59], v[44:47]// 0000000064FC: D3D4002C 14B271E8
	ds_read_b64_tr_b16 v[96:97], v13 offset:24576              // 000000006504: D9C66000 6000000D
	ds_read_b64_tr_b16 v[98:99], v13 offset:24832              // 00000000650C: D9C66100 6200000D
	v_mfma_f32_16x16x32_f16 v[44:47], v[236:239], a[60:63], v[44:47]// 000000006514: D3D4002C 14B279EC
	v_fma_f32 v40, v40, s57, -v104                             // 00000000651C: D1CB0028 85A07328
	v_fma_f32 v41, v41, s57, -v105                             // 000000006524: D1CB0029 85A47329
	buffer_atomic_add_f32 v109, v8, s[32:35], 0 offen          // 00000000652C: E1341000 80086D08
	s_waitcnt lgkmcnt(10)                                      // 000000006534: BF8CCA7F
	v_mfma_f32_16x16x32_f16 v[44:47], v[240:243], v[248:251], v[44:47]// 000000006538: D3D4002C 04B3F1F0
	ds_read_b64_tr_b16 v[100:101], v13 offset:25600            // 000000006540: D9C66400 6400000D
	ds_read_b64_tr_b16 v[102:103], v13 offset:25856            // 000000006548: D9C66500 6600000D
	v_mfma_f32_16x16x32_f16 v[44:47], v[244:247], v[252:255], v[44:47]// 000000006550: D3D4002C 04B3F9F4
	v_fma_f32 v42, v42, s57, -v106                             // 000000006558: D1CB002A 85A8732A
	v_fma_f32 v43, v43, s57, -v107                             // 000000006560: D1CB002B 85AC732B
	s_cmp_eq_i32 s90, 0                                        // 000000006568: BF00805A
	s_cbranch_scc1 label_09F5                                  // 00000000656C: BF85008F
	s_cmp_lt_i32 s74, 12                                       // 000000006570: BF048C4A
	s_cbranch_scc0 label_09A0                                  // 000000006574: BF84003D
	s_lshl_b32 s60, s74, 4                                     // 000000006578: 8E3C844A
	v_sub_i32 v32, v24, s60                                    // 00000000657C: D29D0020 00007918
	s_mov_b32 s61, 0                                           // 000000006584: BEBD0080
	v_add_i32 v33, v32, s61                                    // 000000006588: D29C0021 00007B20
	v_cmp_gt_i32_e64 s[60:61], v33, 0                          // 000000006590: D0C4003C 00010121
	v_cmp_gt_i32_e64 s[92:93], v33, 1                          // 000000006598: D0C4005C 00010321
	v_cndmask_b32_e64 v36, v36, v127, s[60:61]                 // 0000000065A0: D1000024 00F2FF24
	v_cndmask_b32_e64 v37, v37, v127, s[92:93]                 // 0000000065A8: D1000025 0172FF25
	v_cmp_gt_i32_e64 s[60:61], v33, 2                          // 0000000065B0: D0C4003C 00010521
	v_cmp_gt_i32_e64 s[92:93], v33, 3                          // 0000000065B8: D0C4005C 00010721
	v_cndmask_b32_e64 v38, v38, v127, s[60:61]                 // 0000000065C0: D1000026 00F2FF26
	v_cndmask_b32_e64 v39, v39, v127, s[92:93]                 // 0000000065C8: D1000027 0172FF27
	s_mov_b32 s61, 64                                          // 0000000065D0: BEBD00C0
	v_add_i32 v33, v32, s61                                    // 0000000065D4: D29C0021 00007B20
	v_cmp_gt_i32_e64 s[60:61], v33, 0                          // 0000000065DC: D0C4003C 00010121
	v_cmp_gt_i32_e64 s[92:93], v33, 1                          // 0000000065E4: D0C4005C 00010321
	v_cndmask_b32_e64 v40, v40, v127, s[60:61]                 // 0000000065EC: D1000028 00F2FF28
	v_cndmask_b32_e64 v41, v41, v127, s[92:93]                 // 0000000065F4: D1000029 0172FF29
	v_cmp_gt_i32_e64 s[60:61], v33, 2                          // 0000000065FC: D0C4003C 00010521
	v_cmp_gt_i32_e64 s[92:93], v33, 3                          // 000000006604: D0C4005C 00010721
	v_cndmask_b32_e64 v42, v42, v127, s[60:61]                 // 00000000660C: D100002A 00F2FF2A
	v_cndmask_b32_e64 v43, v43, v127, s[92:93]                 // 000000006614: D100002B 0172FF2B
	s_mov_b32 s61, 0x80                                        // 00000000661C: BEBD00FF 00000080
	v_add_i32 v33, v32, s61                                    // 000000006624: D29C0021 00007B20
	v_cmp_gt_i32_e64 s[60:61], v33, 0                          // 00000000662C: D0C4003C 00010121
	v_cmp_gt_i32_e64 s[92:93], v33, 1                          // 000000006634: D0C4005C 00010321
	v_cndmask_b32_e64 v44, v44, v127, s[60:61]                 // 00000000663C: D100002C 00F2FF2C
	v_cndmask_b32_e64 v45, v45, v127, s[92:93]                 // 000000006644: D100002D 0172FF2D
	v_cmp_gt_i32_e64 s[60:61], v33, 2                          // 00000000664C: D0C4003C 00010521
	v_cmp_gt_i32_e64 s[92:93], v33, 3                          // 000000006654: D0C4005C 00010721
	v_cndmask_b32_e64 v46, v46, v127, s[60:61]                 // 00000000665C: D100002E 00F2FF2E
	v_cndmask_b32_e64 v47, v47, v127, s[92:93]                 // 000000006664: D100002F 0172FF2F

000000000000666c <label_09A0>:
	s_cmp_lt_i32 s64, 0xc0                                     // 00000000666C: BF04FF40 000000C0
	s_cbranch_scc0 label_09F5                                  // 000000006674: BF84004D
	s_cmp_le_i32 s64, 64                                       // 000000006678: BF05C040
	s_cbranch_scc1 label_09AC                                  // 00000000667C: BF850007
	s_cmp_le_i32 s64, 0x80                                     // 000000006680: BF05FF40 00000080
	s_cbranch_scc1 label_09C4                                  // 000000006688: BF850017
	s_cmp_lt_i32 s64, 0xc0                                     // 00000000668C: BF04FF40 000000C0
	s_cbranch_scc1 label_09DC                                  // 000000006694: BF85002C
	s_branch label_09F5                                        // 000000006698: BF820044

000000000000669c <label_09AC>:
	s_mov_b32 s60, 0                                           // 00000000669C: BEBC0080
	v_and_b32_e32 v32, 15, v0                                  // 0000000066A0: 2640008F
	v_add_u32_e64 v32, v32, s60                                // 0000000066A4: D1340020 00007920
	v_mul_i32_i24_e64 v33, s46, 16                             // 0000000066AC: D1060021 0001202E
	v_add_u32_e32 v32, v32, v33                                // 0000000066B4: 68404320
	v_cmp_lt_u32_e64 s[60:61], v32, s64                        // 0000000066B8: D0C9003C 00008120
	s_nop 1                                                    // 0000000066C0: BF800001
	v_cndmask_b32_e64 v36, v127, v36, s[60:61]                 // 0000000066C4: D1000024 00F2497F
	v_cndmask_b32_e64 v37, v127, v37, s[60:61]                 // 0000000066CC: D1000025 00F24B7F
	v_cndmask_b32_e64 v38, v127, v38, s[60:61]                 // 0000000066D4: D1000026 00F24D7F
	v_cndmask_b32_e64 v39, v127, v39, s[60:61]                 // 0000000066DC: D1000027 00F24F7F
	s_branch label_09D7                                        // 0000000066E4: BF820013

00000000000066e8 <label_09C4>:
	s_mov_b32 s60, 64                                          // 0000000066E8: BEBC00C0
	v_and_b32_e32 v32, 15, v0                                  // 0000000066EC: 2640008F
	v_add_u32_e64 v32, v32, s60                                // 0000000066F0: D1340020 00007920
	v_mul_i32_i24_e64 v33, s46, 16                             // 0000000066F8: D1060021 0001202E
	v_add_u32_e32 v32, v32, v33                                // 000000006700: 68404320
	v_cmp_lt_u32_e64 s[60:61], v32, s64                        // 000000006704: D0C9003C 00008120
	s_nop 1                                                    // 00000000670C: BF800001
	v_cndmask_b32_e64 v40, v127, v40, s[60:61]                 // 000000006710: D1000028 00F2517F
	v_cndmask_b32_e64 v41, v127, v41, s[60:61]                 // 000000006718: D1000029 00F2537F
	v_cndmask_b32_e64 v42, v127, v42, s[60:61]                 // 000000006720: D100002A 00F2557F
	v_cndmask_b32_e64 v43, v127, v43, s[60:61]                 // 000000006728: D100002B 00F2577F
	s_branch label_09F0                                        // 000000006730: BF820019

0000000000006734 <label_09D7>:
	v_mov_b32_e32 v40, v127                                    // 000000006734: 7E50037F
	v_mov_b32_e32 v41, v127                                    // 000000006738: 7E52037F
	v_mov_b32_e32 v42, v127                                    // 00000000673C: 7E54037F
	v_mov_b32_e32 v43, v127                                    // 000000006740: 7E56037F
	s_branch label_09F0                                        // 000000006744: BF820014

0000000000006748 <label_09DC>:
	s_mov_b32 s60, 0x80                                        // 000000006748: BEBC00FF 00000080
	v_and_b32_e32 v32, 15, v0                                  // 000000006750: 2640008F
	v_add_u32_e64 v32, v32, s60                                // 000000006754: D1340020 00007920
	v_mul_i32_i24_e64 v33, s46, 16                             // 00000000675C: D1060021 0001202E
	v_add_u32_e32 v32, v32, v33                                // 000000006764: 68404320
	v_cmp_lt_u32_e64 s[60:61], v32, s64                        // 000000006768: D0C9003C 00008120
	s_nop 1                                                    // 000000006770: BF800001
	v_cndmask_b32_e64 v44, v127, v44, s[60:61]                 // 000000006774: D100002C 00F2597F
	v_cndmask_b32_e64 v45, v127, v45, s[60:61]                 // 00000000677C: D100002D 00F25B7F
	v_cndmask_b32_e64 v46, v127, v46, s[60:61]                 // 000000006784: D100002E 00F25D7F
	v_cndmask_b32_e64 v47, v127, v47, s[60:61]                 // 00000000678C: D100002F 00F25F7F
	s_branch label_09F5                                        // 000000006794: BF820005

0000000000006798 <label_09F0>:
	v_mov_b32_e32 v44, v127                                    // 000000006798: 7E58037F
	v_mov_b32_e32 v45, v127                                    // 00000000679C: 7E5A037F
	v_mov_b32_e32 v46, v127                                    // 0000000067A0: 7E5C037F
	v_mov_b32_e32 v47, v127                                    // 0000000067A4: 7E5E037F
	s_branch label_09F5                                        // 0000000067A8: BF820000

00000000000067ac <label_09F5>:
	s_addk_i32 s74, 0x1                                        // 0000000067AC: B74A0001
	s_waitcnt lgkmcnt(8)                                       // 0000000067B0: BF8CC87F
	v_mfma_f32_16x16x32_f16 v[60:63], v[72:75], a[64:67], 0    // 0000000067B4: D3D4003C 12028148
	v_exp_f32_e32 v36, v36                                     // 0000000067BC: 7E484124
	v_exp_f32_e32 v37, v37                                     // 0000000067C0: 7E4A4125
	v_mfma_f32_16x16x32_f16 v[60:63], v[76:79], a[68:71], v[60:63]// 0000000067C4: D3D4003C 14F2894C
	v_exp_f32_e32 v38, v38                                     // 0000000067CC: 7E4C4126
	v_exp_f32_e32 v39, v39                                     // 0000000067D0: 7E4E4127
	v_mfma_f32_16x16x32_f16 v[60:63], v[80:83], a[72:75], v[60:63]// 0000000067D4: D3D4003C 14F29150
	ds_read_b64_tr_b16 v[224:225], v13 offset:6144             // 0000000067DC: D9C61800 E000000D
	ds_read_b64_tr_b16 v[226:227], v13 offset:6400             // 0000000067E4: D9C61900 E200000D
	ds_read_b64_tr_b16 v[228:229], v13 offset:7168             // 0000000067EC: D9C61C00 E400000D
	ds_read_b64_tr_b16 v[230:231], v13 offset:7424             // 0000000067F4: D9C61D00 E600000D
	v_mfma_f32_16x16x32_f16 v[60:63], v[84:87], a[76:79], v[60:63]// 0000000067FC: D3D4003C 14F29954
	v_fma_f32 v44, v44, s57, -v104                             // 000000006804: D1CB002C 85A0732C
	v_fma_f32 v45, v45, s57, -v105                             // 00000000680C: D1CB002D 85A4732D
	v_exp_f32_e32 v40, v40                                     // 000000006814: 7E504128
	v_exp_f32_e32 v41, v41                                     // 000000006818: 7E524129
	buffer_atomic_add_f32 v110, v9, s[32:35], 0 offen          // 00000000681C: E1341000 80086E09
	v_mfma_f32_16x16x32_f16 v[64:67], v[72:75], a[80:83], 0    // 000000006824: D3D40040 1202A148
	ds_read_b64_tr_b16 v[232:233], v13 offset:8192             // 00000000682C: D9C62000 E800000D
	ds_read_b64_tr_b16 v[234:235], v13 offset:8448             // 000000006834: D9C62100 EA00000D
	ds_read_b64_tr_b16 v[236:237], v13 offset:9216             // 00000000683C: D9C62400 EC00000D
	ds_read_b64_tr_b16 v[238:239], v13 offset:9472             // 000000006844: D9C62500 EE00000D
	v_mfma_f32_16x16x32_f16 v[64:67], v[76:79], a[84:87], v[64:67]// 00000000684C: D3D40040 1502A94C
	v_fma_f32 v46, v46, s57, -v106                             // 000000006854: D1CB002E 85A8732E
	v_fma_f32 v47, v47, s57, -v107                             // 00000000685C: D1CB002F 85AC732F
	v_exp_f32_e32 v42, v42                                     // 000000006864: 7E54412A
	v_exp_f32_e32 v43, v43                                     // 000000006868: 7E56412B
	v_mfma_f32_16x16x32_f16 v[64:67], v[80:83], a[88:91], v[64:67]// 00000000686C: D3D40040 1502B150
	v_exp_f32_e32 v44, v44                                     // 000000006874: 7E58412C
	v_exp_f32_e32 v45, v45                                     // 000000006878: 7E5A412D
	v_mfma_f32_16x16x32_f16 v[64:67], v[84:87], a[92:95], v[64:67]// 00000000687C: D3D40040 1502B954
	v_cvt_pk_f16_f32 v120, v36, v37                            // 000000006884: D2670078 00024B24
	v_cvt_pk_f16_f32 v121, v38, v39                            // 00000000688C: D2670079 00024F26
	v_cvt_pk_f16_f32 v122, v40, v41                            // 000000006894: D267007A 00025328
	v_cvt_pk_f16_f32 v123, v42, v43                            // 00000000689C: D267007B 0002572A
	v_mfma_f32_16x16x32_f16 v[68:71], v[72:75], a[96:99], 0    // 0000000068A4: D3D40044 1202C148
	v_exp_f32_e32 v46, v46                                     // 0000000068AC: 7E5C412E
	v_exp_f32_e32 v47, v47                                     // 0000000068B0: 7E5E412F
	v_mfma_f32_16x16x32_f16 v[68:71], v[76:79], a[100:103], v[68:71]// 0000000068B4: D3D40044 1512C94C
	v_permlane16_swap_b32_e32 v120, v122                       // 0000000068BC: 7EF0B37A
	v_permlane16_swap_b32_e32 v121, v123                       // 0000000068C0: 7EF2B37B
	v_mfma_f32_16x16x32_f16 v[68:71], v[80:83], a[104:107], v[68:71]// 0000000068C4: D3D40044 1512D150
	ds_read_b64_tr_b16 v[240:241], v13 offset:10240            // 0000000068CC: D9C62800 F000000D
	ds_read_b64_tr_b16 v[242:243], v13 offset:10496            // 0000000068D4: D9C62900 F200000D
	ds_read_b64_tr_b16 v[244:245], v13 offset:11264            // 0000000068DC: D9C62C00 F400000D
	ds_read_b64_tr_b16 v[246:247], v13 offset:11520            // 0000000068E4: D9C62D00 F600000D
	v_mfma_f32_16x16x32_f16 v[68:71], v[84:87], a[108:111], v[68:71]// 0000000068EC: D3D40044 1512D954
	v_cvt_pk_f16_f32 v124, v44, v45                            // 0000000068F4: D267007C 00025B2C
	v_cvt_pk_f16_f32 v125, v46, v47                            // 0000000068FC: D267007D 00025F2E
	buffer_atomic_add_f32 v111, v10, s[32:35], 0 offen         // 000000006904: E1341000 80086F0A
	s_waitcnt lgkmcnt(12)                                      // 00000000690C: BF8CCC7F
	v_mfma_f32_32x32x16_f16 v[128:143], v[88:91], v[120:123], v[128:143]// 000000006910: D3D50080 0602F158
	ds_read_b64_tr_b16 a[0:1], v19                             // 000000006918: DBC60000 00000013
	ds_read_b64_tr_b16 a[2:3], v19 offset:256                  // 000000006920: DBC60100 02000013
	ds_read_b64_tr_b16 a[4:5], v19 offset:12288                // 000000006928: DBC63000 04000013
	ds_read_b64_tr_b16 a[6:7], v19 offset:12544                // 000000006930: DBC63100 06000013
	ds_read_b64_tr_b16 a[8:9], v19 offset:24576                // 000000006938: DBC66000 08000013
	buffer_atomic_add_f32 v112, v7, s[32:35], 0 offen offset:64// 000000006940: E1341040 80087007
	v_mfma_f32_32x32x16_f16 v[144:159], v[92:95], v[120:123], v[144:159]// 000000006948: D3D50090 0642F15C
	v_subrev_f32_dpp v60, v126, v60 quad_perm:[0,0,0,0] row_mask:0xf bank_mask:0xf// 000000006950: 067878FA FF00007E
	v_subrev_f32_dpp v61, v126, v61 quad_perm:[1,1,1,1] row_mask:0xf bank_mask:0xf// 000000006958: 067A7AFA FF00557E
	v_subrev_f32_dpp v62, v126, v62 quad_perm:[2,2,2,2] row_mask:0xf bank_mask:0xf// 000000006960: 067C7CFA FF00AA7E
	v_subrev_f32_dpp v63, v126, v63 quad_perm:[3,3,3,3] row_mask:0xf bank_mask:0xf// 000000006968: 067E7EFA FF00FF7E
	v_subrev_f32_dpp v64, v126, v64 quad_perm:[0,0,0,0] row_mask:0xf bank_mask:0xf// 000000006970: 068080FA FF00007E
	v_subrev_f32_dpp v65, v126, v65 quad_perm:[1,1,1,1] row_mask:0xf bank_mask:0xf// 000000006978: 068282FA FF00557E
	v_subrev_f32_dpp v66, v126, v66 quad_perm:[2,2,2,2] row_mask:0xf bank_mask:0xf// 000000006980: 068484FA FF00AA7E
	v_subrev_f32_dpp v67, v126, v67 quad_perm:[3,3,3,3] row_mask:0xf bank_mask:0xf// 000000006988: 068686FA FF00FF7E
	v_mul_f32_e32 v60, v36, v60                                // 000000006990: 0A787924
	v_mul_f32_e32 v61, v37, v61                                // 000000006994: 0A7A7B25
	v_mul_f32_e32 v62, v38, v62                                // 000000006998: 0A7C7D26
	v_mul_f32_e32 v63, v39, v63                                // 00000000699C: 0A7E7F27
	v_mfma_f32_32x32x16_f16 v[160:175], v[96:99], v[120:123], v[160:175]// 0000000069A0: D3D500A0 0682F160
	ds_read_b64_tr_b16 a[10:11], v19 offset:24832              // 0000000069A8: DBC66100 0A000013
	ds_read_b64_tr_b16 a[12:13], v19 offset:36864              // 0000000069B0: DBC69000 0C000013
	ds_read_b64_tr_b16 a[14:15], v19 offset:37120              // 0000000069B8: DBC69100 0E000013
	ds_read_b64_tr_b16 a[16:17], v19 offset:49152              // 0000000069C0: DBC6C000 10000013
	ds_read_b64_tr_b16 a[18:19], v19 offset:49408              // 0000000069C8: DBC6C100 12000013
	ds_read_b32 v104, v16 offset:38656                         // 0000000069D0: D86C9700 68000010
	v_mfma_f32_32x32x16_f16 v[176:191], v[100:103], v[120:123], v[176:191]// 0000000069D8: D3D500B0 06C2F164
	v_mul_f32_e32 v64, v40, v64                                // 0000000069E0: 0A808128
	v_mul_f32_e32 v65, v41, v65                                // 0000000069E4: 0A828329
	v_mul_f32_e32 v66, v42, v66                                // 0000000069E8: 0A84852A
	v_mul_f32_e32 v67, v43, v67                                // 0000000069EC: 0A86872B
	v_permlane16_swap_b32_e32 v88, v90                         // 0000000069F0: 7EB0B35A
	v_permlane16_swap_b32_e32 v89, v91                         // 0000000069F4: 7EB2B35B
	v_cvt_pk_f16_f32 v60, v60, v61                             // 0000000069F8: D267003C 00027B3C
	v_cvt_pk_f16_f32 v61, v62, v63                             // 000000006A00: D267003D 00027F3E
	v_cvt_pk_f16_f32 v62, v64, v65                             // 000000006A08: D267003E 00028340
	v_cvt_pk_f16_f32 v63, v66, v67                             // 000000006A10: D267003F 00028742
	v_permlane16_swap_b32_e32 v92, v94                         // 000000006A18: 7EB8B35E
	v_permlane16_swap_b32_e32 v93, v95                         // 000000006A1C: 7EBAB35F
	v_mfma_f32_16x16x16_f16 v[192:195], v[88:89], v[124:125], v[192:195]// 000000006A20: D3CD00C0 0702F958
	buffer_atomic_add_f32 v113, v8, s[32:35], 0 offen offset:64// 000000006A28: E1341040 80087108
	ds_write_b64 v15, v[60:61] offset:30720                    // 000000006A30: D89A7800 00003C0F
	ds_write_b64 v15, v[62:63] offset:33024                    // 000000006A38: D89A8100 00003E0F
	v_mfma_f32_16x16x16_f16 v[196:199], v[90:91], v[124:125], v[196:199]// 000000006A40: D3CD00C4 0712F95A
	v_permlane16_swap_b32_e32 v96, v98                         // 000000006A48: 7EC0B362
	v_permlane16_swap_b32_e32 v97, v99                         // 000000006A4C: 7EC2B363
	v_subrev_f32_dpp v68, v126, v68 quad_perm:[0,0,0,0] row_mask:0xf bank_mask:0xf// 000000006A50: 068888FA FF00007E
	v_subrev_f32_dpp v69, v126, v69 quad_perm:[1,1,1,1] row_mask:0xf bank_mask:0xf// 000000006A58: 068A8AFA FF00557E
	v_mfma_f32_16x16x16_f16 v[200:203], v[92:93], v[124:125], v[200:203]// 000000006A60: D3CD00C8 0722F95C
	v_permlane16_swap_b32_e32 v100, v102                       // 000000006A68: 7EC8B366
	v_permlane16_swap_b32_e32 v101, v103                       // 000000006A6C: 7ECAB367
	v_subrev_f32_dpp v70, v126, v70 quad_perm:[2,2,2,2] row_mask:0xf bank_mask:0xf// 000000006A70: 068C8CFA FF00AA7E
	v_subrev_f32_dpp v71, v126, v71 quad_perm:[3,3,3,3] row_mask:0xf bank_mask:0xf// 000000006A78: 068E8EFA FF00FF7E
	v_mfma_f32_16x16x16_f16 v[204:207], v[94:95], v[124:125], v[204:207]// 000000006A80: D3CD00CC 0732F95E
	v_permlane16_swap_b32_e32 v60, v62                         // 000000006A88: 7E78B33E
	v_permlane16_swap_b32_e32 v61, v63                         // 000000006A8C: 7E7AB33F
	v_mfma_f32_16x16x16_f16 v[208:211], v[96:97], v[124:125], v[208:211]// 000000006A90: D3CD00D0 0742F960
	ds_read_b64_tr_b16 a[20:21], v19 offset:61440              // 000000006A98: DBC6F000 14000013
	ds_read_b64_tr_b16 a[22:23], v19 offset:61696              // 000000006AA0: DBC6F100 16000013
	ds_read_b64_tr_b16 a[24:25], v20                           // 000000006AA8: DBC60000 18000014
	v_mfma_f32_16x16x16_f16 v[212:215], v[98:99], v[124:125], v[212:215]// 000000006AB0: D3CD00D4 0752F962
	v_mul_f32_e32 v68, v44, v68                                // 000000006AB8: 0A88892C
	v_mul_f32_e32 v69, v45, v69                                // 000000006ABC: 0A8A8B2D
	v_mul_f32_e32 v70, v46, v70                                // 000000006AC0: 0A8C8D2E
	v_mfma_f32_16x16x16_f16 v[216:219], v[100:101], v[124:125], v[216:219]// 000000006AC4: D3CD00D8 0762F964
	ds_read_b32 v126, v16 offset:38912                         // 000000006ACC: D86C9800 7E000010
	ds_read_b64_tr_b16 a[26:27], v20 offset:256                // 000000006AD4: DBC60100 1A000014
	ds_read_b64_tr_b16 a[28:29], v20 offset:12288              // 000000006ADC: DBC63000 1C000014
	v_mfma_f32_16x16x16_f16 v[220:223], v[102:103], v[124:125], v[220:223]// 000000006AE4: D3CD00DC 0772F966
	v_mul_f32_e32 v71, v47, v71                                // 000000006AEC: 0A8E8F2F
	v_cvt_pk_f16_f32 v64, v68, v69                             // 000000006AF0: D2670040 00028B44
	v_cvt_pk_f16_f32 v65, v70, v71                             // 000000006AF8: D2670041 00028F46
	s_waitcnt lgkmcnt(8)                                       // 000000006B00: BF8CC87F
	v_mfma_f32_32x32x16_f16 a[112:127], v[224:227], v[60:63], a[112:127]// 000000006B04: D3D58070 05C279E0
	ds_read_b64_tr_b16 a[30:31], v20 offset:12544              // 000000006B0C: DBC63100 1E000014
	ds_write_b64 v15, v[64:65] offset:35328                    // 000000006B14: D89A8A00 0000400F
	ds_read_b64_tr_b16 a[32:33], v20 offset:24576              // 000000006B1C: DBC66000 20000014
	ds_read_b64_tr_b16 a[34:35], v20 offset:24832              // 000000006B24: DBC66100 22000014
	v_mfma_f32_32x32x16_f16 a[128:143], v[228:231], v[60:63], a[128:143]// 000000006B2C: D3D58080 060279E4
	v_mul_f32_e32 v104, s48, v104                              // 000000006B34: 0AD0D030
	buffer_atomic_add_f32 v114, v9, s[32:35], 0 offen offset:64// 000000006B38: E1341040 80087209
	v_mfma_f32_32x32x16_f16 a[144:159], v[232:235], v[60:63], a[144:159]// 000000006B40: D3D58090 064279E8
	ds_read_b64_tr_b16 a[36:37], v20 offset:36864              // 000000006B48: DBC69000 24000014
	ds_read_b64_tr_b16 a[38:39], v20 offset:37120              // 000000006B50: DBC69100 26000014
	ds_read_b64_tr_b16 a[40:41], v20 offset:49152              // 000000006B58: DBC6C000 28000014
	ds_read_b64_tr_b16 a[42:43], v20 offset:49408              // 000000006B60: DBC6C100 2A000014
	ds_read_b64_tr_b16 a[44:45], v20 offset:61440              // 000000006B68: DBC6F000 2C000014
	ds_read_b64_tr_b16 a[46:47], v20 offset:61696              // 000000006B70: DBC6F100 2E000014
	v_mfma_f32_32x32x16_f16 a[160:175], v[236:239], v[60:63], a[160:175]// 000000006B78: D3D580A0 068279EC
	.long 0x7fc0b3e2                                           // 000000006B80: 7FC0B3E2
	.long 0x7fc2b3e3                                           // 000000006B84: 7FC2B3E3
	buffer_atomic_add_f32 v115, v10, s[32:35], 0 offen offset:64// 000000006B88: E1341040 8008730A
	s_waitcnt lgkmcnt(8)                                       // 000000006B90: BF8CC87F
	s_barrier                                                  // 000000006B94: BF8A0000
	v_mfma_f32_32x32x16_f16 a[176:191], v[240:243], v[60:63], a[176:191]// 000000006B98: D3D580B0 06C279F0
	ds_read_b64_tr_b16 v[36:37], v14 offset:30720              // 000000006BA0: D9C67800 2400000E
	ds_read_b64_tr_b16 v[38:39], v14 offset:30752              // 000000006BA8: D9C67820 2600000E
	ds_read_b64_tr_b16 v[40:41], v14 offset:31872              // 000000006BB0: D9C67C80 2800000E
	ds_read_b64_tr_b16 v[42:43], v14 offset:31904              // 000000006BB8: D9C67CA0 2A00000E
	ds_read_b64_tr_b16 v[44:45], v14 offset:33024              // 000000006BC0: D9C68100 2C00000E
	ds_read_b64_tr_b16 v[46:47], v14 offset:33056              // 000000006BC8: D9C68120 2E00000E
	v_mfma_f32_32x32x16_f16 a[192:207], v[244:247], v[60:63], a[192:207]// 000000006BD0: D3D580C0 070279F4
	.long 0x7fc8b3e6                                           // 000000006BD8: 7FC8B3E6
	.long 0x7fcab3e7                                           // 000000006BDC: 7FCAB3E7
	v_mov_b32_dpp v107, v104 quad_perm:[3,3,3,3] row_mask:0xf bank_mask:0xf// 000000006BE0: 7ED602FA FF00FF68
	v_mov_b32_dpp v106, v104 quad_perm:[2,2,2,2] row_mask:0xf bank_mask:0xf// 000000006BE8: 7ED402FA FF00AA68
	buffer_atomic_add_f32 v116, v7, s[32:35], 0 offen offset:128// 000000006BF0: E1341080 80087407
	v_mfma_f32_16x16x16_f16 a[208:211], v[224:225], v[64:65], a[208:211]// 000000006BF8: D3CD80D0 074281E0
	ds_read_b64_tr_b16 v[48:49], v14 offset:34176              // 000000006C00: D9C68580 3000000E
	ds_read_b64_tr_b16 v[50:51], v14 offset:34208              // 000000006C08: D9C685A0 3200000E
	ds_read_b64_tr_b16 v[52:53], v14 offset:35328              // 000000006C10: D9C68A00 3400000E
	v_mfma_f32_16x16x16_f16 a[212:215], v[226:227], v[64:65], a[212:215]// 000000006C18: D3CD80D4 075281E2
	.long 0x7fd0b3ea                                           // 000000006C20: 7FD0B3EA
	.long 0x7fd2b3eb                                           // 000000006C24: 7FD2B3EB
	v_mfma_f32_16x16x16_f16 a[216:219], v[228:229], v[64:65], a[216:219]// 000000006C28: D3CD80D8 076281E4
	ds_read_b64_tr_b16 v[54:55], v14 offset:35360              // 000000006C30: D9C68A20 3600000E
	ds_read_b64_tr_b16 v[56:57], v14 offset:36480              // 000000006C38: D9C68E80 3800000E
	ds_read_b64_tr_b16 v[58:59], v14 offset:36512              // 000000006C40: D9C68EA0 3A00000E
	v_mfma_f32_16x16x16_f16 a[220:223], v[230:231], v[64:65], a[220:223]// 000000006C48: D3CD80DC 077281E6
	v_permlane16_swap_b32_e32 v236, v238                       // 000000006C50: 7FD8B3EE
	v_permlane16_swap_b32_e32 v237, v239                       // 000000006C54: 7FDAB3EF
	buffer_atomic_add_f32 v117, v8, s[32:35], 0 offen offset:128// 000000006C58: E1341080 80087508
	v_mfma_f32_16x16x16_f16 a[224:227], v[232:233], v[64:65], a[224:227]// 000000006C60: D3CD80E0 078281E8
	ds_read_b64_tr_b16 a[48:49], v21                           // 000000006C68: DBC60000 30000015
	ds_read_b64_tr_b16 a[50:51], v21 offset:256                // 000000006C70: DBC60100 32000015
	ds_read_b64_tr_b16 a[52:53], v21 offset:12288              // 000000006C78: DBC63000 34000015
	v_mfma_f32_16x16x16_f16 a[228:231], v[234:235], v[64:65], a[228:231]// 000000006C80: D3CD80E4 079281EA
	v_permlane16_swap_b32_e32 v240, v242                       // 000000006C88: 7FE0B3F2
	v_permlane16_swap_b32_e32 v241, v243                       // 000000006C8C: 7FE2B3F3
	v_mfma_f32_16x16x16_f16 a[232:235], v[236:237], v[64:65], a[232:235]// 000000006C90: D3CD80E8 07A281EC
	ds_read_b64_tr_b16 a[54:55], v21 offset:12544              // 000000006C98: DBC63100 36000015
	ds_read_b64_tr_b16 a[56:57], v21 offset:24576              // 000000006CA0: DBC66000 38000015
	ds_read_b64_tr_b16 a[58:59], v21 offset:24832              // 000000006CA8: DBC66100 3A000015
	v_mfma_f32_16x16x16_f16 a[236:239], v[238:239], v[64:65], a[236:239]// 000000006CB0: D3CD80EC 07B281EE
	v_permlane16_swap_b32_e32 v244, v246                       // 000000006CB8: 7FE8B3F6
	v_permlane16_swap_b32_e32 v245, v247                       // 000000006CBC: 7FEAB3F7
	v_mfma_f32_16x16x16_f16 a[240:243], v[240:241], v[64:65], a[240:243]// 000000006CC0: D3CD80F0 07C281F0
	ds_read_b64_tr_b16 a[60:61], v21 offset:36864              // 000000006CC8: DBC69000 3C000015
	ds_read_b64_tr_b16 a[62:63], v21 offset:37120              // 000000006CD0: DBC69100 3E000015
	ds_read_b64_tr_b16 v[248:249], v21 offset:49152            // 000000006CD8: D9C6C000 F8000015
	v_mfma_f32_16x16x16_f16 a[244:247], v[242:243], v[64:65], a[244:247]// 000000006CE0: D3CD80F4 07D281F2
	v_mov_b32_dpp v105, v104 quad_perm:[1,1,1,1] row_mask:0xf bank_mask:0xf// 000000006CE8: 7ED202FA FF005568
	buffer_atomic_add_f32 v118, v9, s[32:35], 0 offen offset:128// 000000006CF0: E1341080 80087609
	v_mfma_f32_16x16x16_f16 a[248:251], v[244:245], v[64:65], a[248:251]// 000000006CF8: D3CD80F8 07E281F4
	ds_read_b64_tr_b16 v[250:251], v21 offset:49408            // 000000006D00: D9C6C100 FA000015
	ds_read_b64_tr_b16 v[252:253], v21 offset:61440            // 000000006D08: D9C6F000 FC000015
	ds_read_b64_tr_b16 v[254:255], v21 offset:61696            // 000000006D10: D9C6F100 FE000015
	v_mfma_f32_16x16x16_f16 a[252:255], v[246:247], v[64:65], a[252:255]// 000000006D18: D3CD80FC 07F281F6
	v_mov_b32_dpp v104, v104 quad_perm:[0,0,0,0] row_mask:0xf bank_mask:0xf// 000000006D20: 7ED002FA FF000068
	buffer_atomic_add_f32 v119, v10, s[32:35], 0 offen offset:128// 000000006D28: E1341080 8008770A
	s_waitcnt vmcnt(12) lgkmcnt(6)                             // 000000006D30: BF8C067C
	s_barrier                                                  // 000000006D34: BF8A0000
	v_mfma_f32_16x16x32_f16 v[108:111], v[36:39], a[0:3], 0    // 000000006D38: D3D4006C 12020124
	ds_read_b128 v[224:227], v12 offset:12288                  // 000000006D40: D9FE3000 E000000C
	ds_read_b128 v[228:231], v12 offset:13312                  // 000000006D48: D9FE3400 E400000C
	v_mfma_f32_16x16x32_f16 v[108:111], v[40:43], a[4:7], v[108:111]// 000000006D50: D3D4006C 15B20928
	s_mov_b32 m0, s84                                          // 000000006D58: BEFC0054
	buffer_load_dwordx4 v1, s[8:11], 0 idxen lds               // 000000006D5C: E05D2000 80020001
	v_mfma_f32_16x16x32_f16 v[108:111], v[44:47], a[8:11], v[108:111]// 000000006D64: D3D4006C 15B2112C
	ds_read_b128 v[232:235], v12 offset:14336                  // 000000006D6C: D9FE3800 E800000C
	ds_read_b128 v[236:239], v12 offset:15360                  // 000000006D74: D9FE3C00 EC00000C
	v_mfma_f32_16x16x32_f16 v[108:111], v[48:51], a[12:15], v[108:111]// 000000006D7C: D3D4006C 15B21930
	s_mov_b32 m0, s85                                          // 000000006D84: BEFC0055
	buffer_load_dword v2, s[8:11], 0 idxen lds                 // 000000006D88: E0512000 80020002
	v_mfma_f32_16x16x32_f16 v[108:111], v[52:55], a[16:19], v[108:111]// 000000006D90: D3D4006C 15B22134
	ds_read_b128 v[240:243], v12 offset:16384                  // 000000006D98: D9FE4000 F000000C
	ds_read_b128 v[244:247], v12 offset:17408                  // 000000006DA0: D9FE4400 F400000C
	v_mfma_f32_16x16x32_f16 v[108:111], v[56:59], a[20:23], v[108:111]// 000000006DA8: D3D4006C 15B22938
	s_mov_b32 m0, s86                                          // 000000006DB0: BEFC0056
	buffer_load_dword v3, s[8:11], 0 idxen lds                 // 000000006DB4: E0512000 80020003
	v_mfma_f32_16x16x32_f16 v[112:115], v[36:39], a[24:27], 0  // 000000006DBC: D3D40070 12023124
	ds_read_b128 a[0:3], v17                                   // 000000006DC4: DBFE0000 00000011
	ds_read_b128 a[4:7], v17 offset:1024                       // 000000006DCC: DBFE0400 04000011
	v_mfma_f32_16x16x32_f16 v[112:115], v[40:43], a[28:31], v[112:115]// 000000006DD4: D3D40070 15C23928
	s_mov_b32 m0, s100                                         // 000000006DDC: BEFC0064
	buffer_load_dwordx4 v4, s[20:23], 0 idxen lds              // 000000006DE0: E05D2000 80050004
	v_mfma_f32_16x16x32_f16 v[112:115], v[44:47], a[32:35], v[112:115]// 000000006DE8: D3D40070 15C2412C
	ds_read_b128 a[8:11], v17 offset:2048                      // 000000006DF0: DBFE0800 08000011
	ds_read_b128 a[12:15], v17 offset:3072                     // 000000006DF8: DBFE0C00 0C000011
	v_mfma_f32_16x16x32_f16 v[112:115], v[48:51], a[36:39], v[112:115]// 000000006E00: D3D40070 15C24930
	v_mul_f32_e32 v108, s47, v108                              // 000000006E08: 0AD8D82F
	v_mul_f32_e32 v109, s47, v109                              // 000000006E0C: 0ADADA2F
	s_mov_b32 m0, s79                                          // 000000006E10: BEFC004F
	buffer_load_dword v11, s[24:27], 0 idxen lds               // 000000006E14: E0512000 8006000B
	v_mfma_f32_16x16x32_f16 v[112:115], v[52:55], a[40:43], v[112:115]// 000000006E1C: D3D40070 15C25134
	ds_read_b128 a[16:19], v17 offset:4096                     // 000000006E24: DBFE1000 10000011
	ds_read_b128 a[20:23], v17 offset:5120                     // 000000006E2C: DBFE1400 14000011
	v_mfma_f32_16x16x32_f16 v[112:115], v[56:59], a[44:47], v[112:115]// 000000006E34: D3D40070 15C25938
	s_add_u32 s60, 64, s59                                     // 000000006E3C: 803C3BC0
	s_cmp_lt_u32 s60, s58                                      // 000000006E40: BF0A3A3C
	s_cselect_b32 s68, s68, 0                                  // 000000006E44: 85448044
	s_cselect_b32 s98, s98, 0                                  // 000000006E48: 85628062
	s_cselect_b32 s69, s69, 0                                  // 000000006E4C: 85458045
	v_mfma_f32_16x16x32_f16 v[116:119], v[36:39], a[48:51], 0  // 000000006E50: D3D40074 12026124
	ds_read_b128 a[24:27], v17 offset:24576                    // 000000006E58: DBFE6000 18000011
	ds_read_b128 a[28:31], v17 offset:25600                    // 000000006E60: DBFE6400 1C000011
	v_mfma_f32_16x16x32_f16 v[116:119], v[40:43], a[52:55], v[116:119]// 000000006E68: D3D40074 15D26928
	v_add_u32_e32 v1, s68, v1                                  // 000000006E70: 68020244
	v_add_u32_e32 v2, s68, v2                                  // 000000006E74: 68040444
	v_add_u32_e32 v3, s68, v3                                  // 000000006E78: 68060644
	v_add_u32_e32 v4, s98, v4                                  // 000000006E7C: 68080862
	v_add_u32_e32 v11, s69, v11                                // 000000006E80: 68161645
	s_waitcnt lgkmcnt(14)                                      // 000000006E84: BF8CCE7F
	v_mfma_f32_16x16x32_f16 v[116:119], v[44:47], a[56:59], v[116:119]// 000000006E88: D3D40074 15D2712C
	ds_read_b128 a[32:35], v17 offset:26624                    // 000000006E90: DBFE6800 20000011
	ds_read_b128 a[36:39], v17 offset:27648                    // 000000006E98: DBFE6C00 24000011
	v_mfma_f32_16x16x32_f16 v[116:119], v[48:51], a[60:63], v[116:119]// 000000006EA0: D3D40074 15D27930
	v_mul_f32_e32 v110, s47, v110                              // 000000006EA8: 0ADCDC2F
	v_mul_f32_e32 v111, s47, v111                              // 000000006EAC: 0ADEDE2F
	s_cmp_ge_u32 s59, s73                                      // 000000006EB0: BF09493B
	s_cselect_b32 s66, s67, s66                                // 000000006EB4: 85424243
	v_mfma_f32_16x16x32_f16 v[116:119], v[52:55], v[248:251], v[116:119]// 000000006EB8: D3D40074 05D3F134
	ds_read_b128 a[40:43], v17 offset:28672                    // 000000006EC0: DBFE7000 28000011
	ds_read_b128 a[44:47], v17 offset:29696                    // 000000006EC8: DBFE7400 2C000011
	v_mfma_f32_16x16x32_f16 v[116:119], v[56:59], v[252:255], v[116:119]// 000000006ED0: D3D40074 05D3F938
	s_addk_i32 s59, 0x10                                       // 000000006ED8: B73B0010
	v_mul_f32_e32 v112, s47, v112                              // 000000006EDC: 0AE0E02F
	v_mul_f32_e32 v113, s47, v113                              // 000000006EE0: 0AE2E22F
	s_cmp_lt_i32 s59, s58                                      // 000000006EE4: BF043A3B
	s_cbranch_scc0 label_0E97                                  // 000000006EE8: BF8402CD
	s_waitcnt lgkmcnt(2)                                       // 000000006EEC: BF8CC27F
	v_mfma_f32_16x16x32_f16 v[36:39], v[224:227], a[0:3], 0    // 000000006EF0: D3D40024 120201E0
	ds_read_b128 a[48:51], v17 offset:49152                    // 000000006EF8: DBFEC000 30000011
	ds_read_b128 a[52:55], v17 offset:50176                    // 000000006F00: DBFEC400 34000011
	v_mfma_f32_16x16x32_f16 v[36:39], v[228:231], a[4:7], v[36:39]// 000000006F08: D3D40024 149209E4
	v_add_u32_e32 v7, s66, v7                                  // 000000006F10: 680E0E42
	v_add_u32_e32 v8, s66, v8                                  // 000000006F14: 68101042
	v_mfma_f32_16x16x32_f16 v[36:39], v[232:235], a[8:11], v[36:39]// 000000006F18: D3D40024 149211E8
	ds_read_b128 a[56:59], v17 offset:51200                    // 000000006F20: DBFEC800 38000011
	ds_read_b128 a[60:63], v17 offset:52224                    // 000000006F28: DBFECC00 3C000011
	v_mfma_f32_16x16x32_f16 v[36:39], v[236:239], a[12:15], v[36:39]// 000000006F30: D3D40024 149219EC
	v_add_u32_e32 v9, s66, v9                                  // 000000006F38: 68121242
	v_add_u32_e32 v10, s66, v10                                // 000000006F3C: 68141442
	v_mfma_f32_16x16x32_f16 v[36:39], v[240:243], a[16:19], v[36:39]// 000000006F40: D3D40024 149221F0
	ds_read_b128 v[248:251], v17 offset:53248                  // 000000006F48: D9FED000 F8000011
	ds_read_b128 v[252:255], v17 offset:54272                  // 000000006F50: D9FED400 FC000011
	v_mfma_f32_16x16x32_f16 v[36:39], v[244:247], a[20:23], v[36:39]// 000000006F58: D3D40024 149229F4
	v_mul_f32_e32 v114, s47, v114                              // 000000006F60: 0AE4E42F
	v_mul_f32_e32 v115, s47, v115                              // 000000006F64: 0AE6E62F
	v_mfma_f32_16x16x32_f16 v[40:43], v[224:227], a[24:27], 0  // 000000006F68: D3D40028 120231E0
	ds_read_b128 v[72:75], v12 offset:26624                    // 000000006F70: D9FE6800 4800000C
	ds_read_b128 v[76:79], v12 offset:27648                    // 000000006F78: D9FE6C00 4C00000C
	v_mfma_f32_16x16x32_f16 v[40:43], v[228:231], a[28:31], v[40:43]// 000000006F80: D3D40028 14A239E4
	v_mul_f32_e32 v116, s47, v116                              // 000000006F88: 0AE8E82F
	v_mul_f32_e32 v117, s47, v117                              // 000000006F8C: 0AEAEA2F
	v_mfma_f32_16x16x32_f16 v[40:43], v[232:235], a[32:35], v[40:43]// 000000006F90: D3D40028 14A241E8
	ds_read_b128 v[80:83], v12 offset:28672                    // 000000006F98: D9FE7000 5000000C
	ds_read_b128 v[84:87], v12 offset:29696                    // 000000006FA0: D9FE7400 5400000C
	v_mfma_f32_16x16x32_f16 v[40:43], v[236:239], a[36:39], v[40:43]// 000000006FA8: D3D40028 14A249EC
	v_mul_f32_e32 v118, s47, v118                              // 000000006FB0: 0AECEC2F
	v_mul_f32_e32 v119, s47, v119                              // 000000006FB4: 0AEEEE2F
	buffer_atomic_add_f32 v108, v7, s[32:35], 0 offen          // 000000006FB8: E1341000 80086C07
	s_waitcnt lgkmcnt(10)                                      // 000000006FC0: BF8CCA7F
	v_mfma_f32_16x16x32_f16 v[40:43], v[240:243], a[40:43], v[40:43]// 000000006FC4: D3D40028 14A251F0
	ds_read_b64_tr_b16 v[88:89], v13 offset:26624              // 000000006FCC: D9C66800 5800000D
	ds_read_b64_tr_b16 v[90:91], v13 offset:26880              // 000000006FD4: D9C66900 5A00000D
	v_mfma_f32_16x16x32_f16 v[40:43], v[244:247], a[44:47], v[40:43]// 000000006FDC: D3D40028 14A259F4
	v_fma_f32 v36, v36, s57, -v104                             // 000000006FE4: D1CB0024 85A07324
	v_fma_f32 v37, v37, s57, -v105                             // 000000006FEC: D1CB0025 85A47325
	s_waitcnt lgkmcnt(10)                                      // 000000006FF4: BF8CCA7F
	v_mfma_f32_16x16x32_f16 v[44:47], v[224:227], a[48:51], 0  // 000000006FF8: D3D4002C 120261E0
	ds_read_b64_tr_b16 v[92:93], v13 offset:27648              // 000000007000: D9C66C00 5C00000D
	ds_read_b64_tr_b16 v[94:95], v13 offset:27904              // 000000007008: D9C66D00 5E00000D
	v_mfma_f32_16x16x32_f16 v[44:47], v[228:231], a[52:55], v[44:47]// 000000007010: D3D4002C 14B269E4
	v_fma_f32 v38, v38, s57, -v106                             // 000000007018: D1CB0026 85A87326
	v_fma_f32 v39, v39, s57, -v107                             // 000000007020: D1CB0027 85AC7327
	s_waitcnt lgkmcnt(10)                                      // 000000007028: BF8CCA7F
	v_mfma_f32_16x16x32_f16 v[44:47], v[232:235], a[56:59], v[44:47]// 00000000702C: D3D4002C 14B271E8
	ds_read_b64_tr_b16 v[96:97], v13 offset:28672              // 000000007034: D9C67000 6000000D
	ds_read_b64_tr_b16 v[98:99], v13 offset:28928              // 00000000703C: D9C67100 6200000D
	v_mfma_f32_16x16x32_f16 v[44:47], v[236:239], a[60:63], v[44:47]// 000000007044: D3D4002C 14B279EC
	v_fma_f32 v40, v40, s57, -v104                             // 00000000704C: D1CB0028 85A07328
	v_fma_f32 v41, v41, s57, -v105                             // 000000007054: D1CB0029 85A47329
	buffer_atomic_add_f32 v109, v8, s[32:35], 0 offen          // 00000000705C: E1341000 80086D08
	s_waitcnt lgkmcnt(10)                                      // 000000007064: BF8CCA7F
	v_mfma_f32_16x16x32_f16 v[44:47], v[240:243], v[248:251], v[44:47]// 000000007068: D3D4002C 04B3F1F0
	ds_read_b64_tr_b16 v[100:101], v13 offset:29696            // 000000007070: D9C67400 6400000D
	ds_read_b64_tr_b16 v[102:103], v13 offset:29952            // 000000007078: D9C67500 6600000D
	v_mfma_f32_16x16x32_f16 v[44:47], v[244:247], v[252:255], v[44:47]// 000000007080: D3D4002C 04B3F9F4
	v_fma_f32 v42, v42, s57, -v106                             // 000000007088: D1CB002A 85A8732A
	v_fma_f32 v43, v43, s57, -v107                             // 000000007090: D1CB002B 85AC732B
	s_cmp_eq_i32 s90, 0                                        // 000000007098: BF00805A
	s_cbranch_scc1 label_0CC6                                  // 00000000709C: BF85008F
	s_cmp_lt_i32 s74, 12                                       // 0000000070A0: BF048C4A
	s_cbranch_scc0 label_0C71                                  // 0000000070A4: BF84003D
	s_lshl_b32 s60, s74, 4                                     // 0000000070A8: 8E3C844A
	v_sub_i32 v32, v24, s60                                    // 0000000070AC: D29D0020 00007918
	s_mov_b32 s61, 0                                           // 0000000070B4: BEBD0080
	v_add_i32 v33, v32, s61                                    // 0000000070B8: D29C0021 00007B20
	v_cmp_gt_i32_e64 s[60:61], v33, 0                          // 0000000070C0: D0C4003C 00010121
	v_cmp_gt_i32_e64 s[92:93], v33, 1                          // 0000000070C8: D0C4005C 00010321
	v_cndmask_b32_e64 v36, v36, v127, s[60:61]                 // 0000000070D0: D1000024 00F2FF24
	v_cndmask_b32_e64 v37, v37, v127, s[92:93]                 // 0000000070D8: D1000025 0172FF25
	v_cmp_gt_i32_e64 s[60:61], v33, 2                          // 0000000070E0: D0C4003C 00010521
	v_cmp_gt_i32_e64 s[92:93], v33, 3                          // 0000000070E8: D0C4005C 00010721
	v_cndmask_b32_e64 v38, v38, v127, s[60:61]                 // 0000000070F0: D1000026 00F2FF26
	v_cndmask_b32_e64 v39, v39, v127, s[92:93]                 // 0000000070F8: D1000027 0172FF27
	s_mov_b32 s61, 64                                          // 000000007100: BEBD00C0
	v_add_i32 v33, v32, s61                                    // 000000007104: D29C0021 00007B20
	v_cmp_gt_i32_e64 s[60:61], v33, 0                          // 00000000710C: D0C4003C 00010121
	v_cmp_gt_i32_e64 s[92:93], v33, 1                          // 000000007114: D0C4005C 00010321
	v_cndmask_b32_e64 v40, v40, v127, s[60:61]                 // 00000000711C: D1000028 00F2FF28
	v_cndmask_b32_e64 v41, v41, v127, s[92:93]                 // 000000007124: D1000029 0172FF29
	v_cmp_gt_i32_e64 s[60:61], v33, 2                          // 00000000712C: D0C4003C 00010521
	v_cmp_gt_i32_e64 s[92:93], v33, 3                          // 000000007134: D0C4005C 00010721
	v_cndmask_b32_e64 v42, v42, v127, s[60:61]                 // 00000000713C: D100002A 00F2FF2A
	v_cndmask_b32_e64 v43, v43, v127, s[92:93]                 // 000000007144: D100002B 0172FF2B
	s_mov_b32 s61, 0x80                                        // 00000000714C: BEBD00FF 00000080
	v_add_i32 v33, v32, s61                                    // 000000007154: D29C0021 00007B20
	v_cmp_gt_i32_e64 s[60:61], v33, 0                          // 00000000715C: D0C4003C 00010121
	v_cmp_gt_i32_e64 s[92:93], v33, 1                          // 000000007164: D0C4005C 00010321
	v_cndmask_b32_e64 v44, v44, v127, s[60:61]                 // 00000000716C: D100002C 00F2FF2C
	v_cndmask_b32_e64 v45, v45, v127, s[92:93]                 // 000000007174: D100002D 0172FF2D
	v_cmp_gt_i32_e64 s[60:61], v33, 2                          // 00000000717C: D0C4003C 00010521
	v_cmp_gt_i32_e64 s[92:93], v33, 3                          // 000000007184: D0C4005C 00010721
	v_cndmask_b32_e64 v46, v46, v127, s[60:61]                 // 00000000718C: D100002E 00F2FF2E
	v_cndmask_b32_e64 v47, v47, v127, s[92:93]                 // 000000007194: D100002F 0172FF2F

000000000000719c <label_0C71>:
	s_cmp_lt_i32 s64, 0xc0                                     // 00000000719C: BF04FF40 000000C0
	s_cbranch_scc0 label_0CC6                                  // 0000000071A4: BF84004D
	s_cmp_le_i32 s64, 64                                       // 0000000071A8: BF05C040
	s_cbranch_scc1 label_0C7D                                  // 0000000071AC: BF850007
	s_cmp_le_i32 s64, 0x80                                     // 0000000071B0: BF05FF40 00000080
	s_cbranch_scc1 label_0C95                                  // 0000000071B8: BF850017
	s_cmp_lt_i32 s64, 0xc0                                     // 0000000071BC: BF04FF40 000000C0
	s_cbranch_scc1 label_0CAD                                  // 0000000071C4: BF85002C
	s_branch label_0CC6                                        // 0000000071C8: BF820044

00000000000071cc <label_0C7D>:
	s_mov_b32 s60, 0                                           // 0000000071CC: BEBC0080
	v_and_b32_e32 v32, 15, v0                                  // 0000000071D0: 2640008F
	v_add_u32_e64 v32, v32, s60                                // 0000000071D4: D1340020 00007920
	v_mul_i32_i24_e64 v33, s46, 16                             // 0000000071DC: D1060021 0001202E
	v_add_u32_e32 v32, v32, v33                                // 0000000071E4: 68404320
	v_cmp_lt_u32_e64 s[60:61], v32, s64                        // 0000000071E8: D0C9003C 00008120
	s_nop 1                                                    // 0000000071F0: BF800001
	v_cndmask_b32_e64 v36, v127, v36, s[60:61]                 // 0000000071F4: D1000024 00F2497F
	v_cndmask_b32_e64 v37, v127, v37, s[60:61]                 // 0000000071FC: D1000025 00F24B7F
	v_cndmask_b32_e64 v38, v127, v38, s[60:61]                 // 000000007204: D1000026 00F24D7F
	v_cndmask_b32_e64 v39, v127, v39, s[60:61]                 // 00000000720C: D1000027 00F24F7F
	s_branch label_0CA8                                        // 000000007214: BF820013

0000000000007218 <label_0C95>:
	s_mov_b32 s60, 64                                          // 000000007218: BEBC00C0
	v_and_b32_e32 v32, 15, v0                                  // 00000000721C: 2640008F
	v_add_u32_e64 v32, v32, s60                                // 000000007220: D1340020 00007920
	v_mul_i32_i24_e64 v33, s46, 16                             // 000000007228: D1060021 0001202E
	v_add_u32_e32 v32, v32, v33                                // 000000007230: 68404320
	v_cmp_lt_u32_e64 s[60:61], v32, s64                        // 000000007234: D0C9003C 00008120
	s_nop 1                                                    // 00000000723C: BF800001
	v_cndmask_b32_e64 v40, v127, v40, s[60:61]                 // 000000007240: D1000028 00F2517F
	v_cndmask_b32_e64 v41, v127, v41, s[60:61]                 // 000000007248: D1000029 00F2537F
	v_cndmask_b32_e64 v42, v127, v42, s[60:61]                 // 000000007250: D100002A 00F2557F
	v_cndmask_b32_e64 v43, v127, v43, s[60:61]                 // 000000007258: D100002B 00F2577F
	s_branch label_0CC1                                        // 000000007260: BF820019

0000000000007264 <label_0CA8>:
	v_mov_b32_e32 v40, v127                                    // 000000007264: 7E50037F
	v_mov_b32_e32 v41, v127                                    // 000000007268: 7E52037F
	v_mov_b32_e32 v42, v127                                    // 00000000726C: 7E54037F
	v_mov_b32_e32 v43, v127                                    // 000000007270: 7E56037F
	s_branch label_0CC1                                        // 000000007274: BF820014

0000000000007278 <label_0CAD>:
	s_mov_b32 s60, 0x80                                        // 000000007278: BEBC00FF 00000080
	v_and_b32_e32 v32, 15, v0                                  // 000000007280: 2640008F
	v_add_u32_e64 v32, v32, s60                                // 000000007284: D1340020 00007920
	v_mul_i32_i24_e64 v33, s46, 16                             // 00000000728C: D1060021 0001202E
	v_add_u32_e32 v32, v32, v33                                // 000000007294: 68404320
	v_cmp_lt_u32_e64 s[60:61], v32, s64                        // 000000007298: D0C9003C 00008120
	s_nop 1                                                    // 0000000072A0: BF800001
	v_cndmask_b32_e64 v44, v127, v44, s[60:61]                 // 0000000072A4: D100002C 00F2597F
	v_cndmask_b32_e64 v45, v127, v45, s[60:61]                 // 0000000072AC: D100002D 00F25B7F
	v_cndmask_b32_e64 v46, v127, v46, s[60:61]                 // 0000000072B4: D100002E 00F25D7F
	v_cndmask_b32_e64 v47, v127, v47, s[60:61]                 // 0000000072BC: D100002F 00F25F7F
	s_branch label_0CC6                                        // 0000000072C4: BF820005

00000000000072c8 <label_0CC1>:
	v_mov_b32_e32 v44, v127                                    // 0000000072C8: 7E58037F
	v_mov_b32_e32 v45, v127                                    // 0000000072CC: 7E5A037F
	v_mov_b32_e32 v46, v127                                    // 0000000072D0: 7E5C037F
	v_mov_b32_e32 v47, v127                                    // 0000000072D4: 7E5E037F
	s_branch label_0CC6                                        // 0000000072D8: BF820000

00000000000072dc <label_0CC6>:
	s_addk_i32 s74, 0x1                                        // 0000000072DC: B74A0001
	s_waitcnt lgkmcnt(8)                                       // 0000000072E0: BF8CC87F
	v_mfma_f32_16x16x32_f16 v[60:63], v[72:75], a[64:67], 0    // 0000000072E4: D3D4003C 12028148
	v_exp_f32_e32 v36, v36                                     // 0000000072EC: 7E484124
	v_exp_f32_e32 v37, v37                                     // 0000000072F0: 7E4A4125
	v_mfma_f32_16x16x32_f16 v[60:63], v[76:79], a[68:71], v[60:63]// 0000000072F4: D3D4003C 14F2894C
	v_exp_f32_e32 v38, v38                                     // 0000000072FC: 7E4C4126
	v_exp_f32_e32 v39, v39                                     // 000000007300: 7E4E4127
	v_mfma_f32_16x16x32_f16 v[60:63], v[80:83], a[72:75], v[60:63]// 000000007304: D3D4003C 14F29150
	ds_read_b64_tr_b16 v[224:225], v13 offset:12288            // 00000000730C: D9C63000 E000000D
	ds_read_b64_tr_b16 v[226:227], v13 offset:12544            // 000000007314: D9C63100 E200000D
	ds_read_b64_tr_b16 v[228:229], v13 offset:13312            // 00000000731C: D9C63400 E400000D
	ds_read_b64_tr_b16 v[230:231], v13 offset:13568            // 000000007324: D9C63500 E600000D
	v_mfma_f32_16x16x32_f16 v[60:63], v[84:87], a[76:79], v[60:63]// 00000000732C: D3D4003C 14F29954
	v_fma_f32 v44, v44, s57, -v104                             // 000000007334: D1CB002C 85A0732C
	v_fma_f32 v45, v45, s57, -v105                             // 00000000733C: D1CB002D 85A4732D
	v_exp_f32_e32 v40, v40                                     // 000000007344: 7E504128
	v_exp_f32_e32 v41, v41                                     // 000000007348: 7E524129
	buffer_atomic_add_f32 v110, v9, s[32:35], 0 offen          // 00000000734C: E1341000 80086E09
	v_mfma_f32_16x16x32_f16 v[64:67], v[72:75], a[80:83], 0    // 000000007354: D3D40040 1202A148
	ds_read_b64_tr_b16 v[232:233], v13 offset:14336            // 00000000735C: D9C63800 E800000D
	ds_read_b64_tr_b16 v[234:235], v13 offset:14592            // 000000007364: D9C63900 EA00000D
	ds_read_b64_tr_b16 v[236:237], v13 offset:15360            // 00000000736C: D9C63C00 EC00000D
	ds_read_b64_tr_b16 v[238:239], v13 offset:15616            // 000000007374: D9C63D00 EE00000D
	v_mfma_f32_16x16x32_f16 v[64:67], v[76:79], a[84:87], v[64:67]// 00000000737C: D3D40040 1502A94C
	v_fma_f32 v46, v46, s57, -v106                             // 000000007384: D1CB002E 85A8732E
	v_fma_f32 v47, v47, s57, -v107                             // 00000000738C: D1CB002F 85AC732F
	v_exp_f32_e32 v42, v42                                     // 000000007394: 7E54412A
	v_exp_f32_e32 v43, v43                                     // 000000007398: 7E56412B
	v_mfma_f32_16x16x32_f16 v[64:67], v[80:83], a[88:91], v[64:67]// 00000000739C: D3D40040 1502B150
	v_exp_f32_e32 v44, v44                                     // 0000000073A4: 7E58412C
	v_exp_f32_e32 v45, v45                                     // 0000000073A8: 7E5A412D
	v_mfma_f32_16x16x32_f16 v[64:67], v[84:87], a[92:95], v[64:67]// 0000000073AC: D3D40040 1502B954
	v_cvt_pk_f16_f32 v120, v36, v37                            // 0000000073B4: D2670078 00024B24
	v_cvt_pk_f16_f32 v121, v38, v39                            // 0000000073BC: D2670079 00024F26
	v_cvt_pk_f16_f32 v122, v40, v41                            // 0000000073C4: D267007A 00025328
	v_cvt_pk_f16_f32 v123, v42, v43                            // 0000000073CC: D267007B 0002572A
	v_mfma_f32_16x16x32_f16 v[68:71], v[72:75], a[96:99], 0    // 0000000073D4: D3D40044 1202C148
	v_exp_f32_e32 v46, v46                                     // 0000000073DC: 7E5C412E
	v_exp_f32_e32 v47, v47                                     // 0000000073E0: 7E5E412F
	v_mfma_f32_16x16x32_f16 v[68:71], v[76:79], a[100:103], v[68:71]// 0000000073E4: D3D40044 1512C94C
	v_permlane16_swap_b32_e32 v120, v122                       // 0000000073EC: 7EF0B37A
	v_permlane16_swap_b32_e32 v121, v123                       // 0000000073F0: 7EF2B37B
	v_mfma_f32_16x16x32_f16 v[68:71], v[80:83], a[104:107], v[68:71]// 0000000073F4: D3D40044 1512D150
	ds_read_b64_tr_b16 v[240:241], v13 offset:16384            // 0000000073FC: D9C64000 F000000D
	ds_read_b64_tr_b16 v[242:243], v13 offset:16640            // 000000007404: D9C64100 F200000D
	ds_read_b64_tr_b16 v[244:245], v13 offset:17408            // 00000000740C: D9C64400 F400000D
	ds_read_b64_tr_b16 v[246:247], v13 offset:17664            // 000000007414: D9C64500 F600000D
	v_mfma_f32_16x16x32_f16 v[68:71], v[84:87], a[108:111], v[68:71]// 00000000741C: D3D40044 1512D954
	v_cvt_pk_f16_f32 v124, v44, v45                            // 000000007424: D267007C 00025B2C
	v_cvt_pk_f16_f32 v125, v46, v47                            // 00000000742C: D267007D 00025F2E
	buffer_atomic_add_f32 v111, v10, s[32:35], 0 offen         // 000000007434: E1341000 80086F0A
	s_waitcnt lgkmcnt(12)                                      // 00000000743C: BF8CCC7F
	v_mfma_f32_32x32x16_f16 v[128:143], v[88:91], v[120:123], v[128:143]// 000000007440: D3D50080 0602F158
	ds_read_b64_tr_b16 a[0:1], v19                             // 000000007448: DBC60000 00000013
	ds_read_b64_tr_b16 a[2:3], v19 offset:256                  // 000000007450: DBC60100 02000013
	ds_read_b64_tr_b16 a[4:5], v19 offset:12288                // 000000007458: DBC63000 04000013
	ds_read_b64_tr_b16 a[6:7], v19 offset:12544                // 000000007460: DBC63100 06000013
	ds_read_b64_tr_b16 a[8:9], v19 offset:24576                // 000000007468: DBC66000 08000013
	buffer_atomic_add_f32 v112, v7, s[32:35], 0 offen offset:64// 000000007470: E1341040 80087007
	v_mfma_f32_32x32x16_f16 v[144:159], v[92:95], v[120:123], v[144:159]// 000000007478: D3D50090 0642F15C
	v_subrev_f32_dpp v60, v126, v60 quad_perm:[0,0,0,0] row_mask:0xf bank_mask:0xf// 000000007480: 067878FA FF00007E
	v_subrev_f32_dpp v61, v126, v61 quad_perm:[1,1,1,1] row_mask:0xf bank_mask:0xf// 000000007488: 067A7AFA FF00557E
	v_subrev_f32_dpp v62, v126, v62 quad_perm:[2,2,2,2] row_mask:0xf bank_mask:0xf// 000000007490: 067C7CFA FF00AA7E
	v_subrev_f32_dpp v63, v126, v63 quad_perm:[3,3,3,3] row_mask:0xf bank_mask:0xf// 000000007498: 067E7EFA FF00FF7E
	v_subrev_f32_dpp v64, v126, v64 quad_perm:[0,0,0,0] row_mask:0xf bank_mask:0xf// 0000000074A0: 068080FA FF00007E
	v_subrev_f32_dpp v65, v126, v65 quad_perm:[1,1,1,1] row_mask:0xf bank_mask:0xf// 0000000074A8: 068282FA FF00557E
	v_subrev_f32_dpp v66, v126, v66 quad_perm:[2,2,2,2] row_mask:0xf bank_mask:0xf// 0000000074B0: 068484FA FF00AA7E
	v_subrev_f32_dpp v67, v126, v67 quad_perm:[3,3,3,3] row_mask:0xf bank_mask:0xf// 0000000074B8: 068686FA FF00FF7E
	v_mul_f32_e32 v60, v36, v60                                // 0000000074C0: 0A787924
	v_mul_f32_e32 v61, v37, v61                                // 0000000074C4: 0A7A7B25
	v_mul_f32_e32 v62, v38, v62                                // 0000000074C8: 0A7C7D26
	v_mul_f32_e32 v63, v39, v63                                // 0000000074CC: 0A7E7F27
	v_mfma_f32_32x32x16_f16 v[160:175], v[96:99], v[120:123], v[160:175]// 0000000074D0: D3D500A0 0682F160
	ds_read_b64_tr_b16 a[10:11], v19 offset:24832              // 0000000074D8: DBC66100 0A000013
	ds_read_b64_tr_b16 a[12:13], v19 offset:36864              // 0000000074E0: DBC69000 0C000013
	ds_read_b64_tr_b16 a[14:15], v19 offset:37120              // 0000000074E8: DBC69100 0E000013
	ds_read_b64_tr_b16 a[16:17], v19 offset:49152              // 0000000074F0: DBC6C000 10000013
	ds_read_b64_tr_b16 a[18:19], v19 offset:49408              // 0000000074F8: DBC6C100 12000013
	ds_read_b32 v104, v16 offset:37632                         // 000000007500: D86C9300 68000010
	v_mfma_f32_32x32x16_f16 v[176:191], v[100:103], v[120:123], v[176:191]// 000000007508: D3D500B0 06C2F164
	v_mul_f32_e32 v64, v40, v64                                // 000000007510: 0A808128
	v_mul_f32_e32 v65, v41, v65                                // 000000007514: 0A828329
	v_mul_f32_e32 v66, v42, v66                                // 000000007518: 0A84852A
	v_mul_f32_e32 v67, v43, v67                                // 00000000751C: 0A86872B
	v_permlane16_swap_b32_e32 v88, v90                         // 000000007520: 7EB0B35A
	v_permlane16_swap_b32_e32 v89, v91                         // 000000007524: 7EB2B35B
	v_cvt_pk_f16_f32 v60, v60, v61                             // 000000007528: D267003C 00027B3C
	v_cvt_pk_f16_f32 v61, v62, v63                             // 000000007530: D267003D 00027F3E
	v_cvt_pk_f16_f32 v62, v64, v65                             // 000000007538: D267003E 00028340
	v_cvt_pk_f16_f32 v63, v66, v67                             // 000000007540: D267003F 00028742
	v_permlane16_swap_b32_e32 v92, v94                         // 000000007548: 7EB8B35E
	v_permlane16_swap_b32_e32 v93, v95                         // 00000000754C: 7EBAB35F
	v_mfma_f32_16x16x16_f16 v[192:195], v[88:89], v[124:125], v[192:195]// 000000007550: D3CD00C0 0702F958
	buffer_atomic_add_f32 v113, v8, s[32:35], 0 offen offset:64// 000000007558: E1341040 80087108
	ds_write_b64 v15, v[60:61] offset:30720                    // 000000007560: D89A7800 00003C0F
	ds_write_b64 v15, v[62:63] offset:33024                    // 000000007568: D89A8100 00003E0F
	v_mfma_f32_16x16x16_f16 v[196:199], v[90:91], v[124:125], v[196:199]// 000000007570: D3CD00C4 0712F95A
	v_permlane16_swap_b32_e32 v96, v98                         // 000000007578: 7EC0B362
	v_permlane16_swap_b32_e32 v97, v99                         // 00000000757C: 7EC2B363
	v_subrev_f32_dpp v68, v126, v68 quad_perm:[0,0,0,0] row_mask:0xf bank_mask:0xf// 000000007580: 068888FA FF00007E
	v_subrev_f32_dpp v69, v126, v69 quad_perm:[1,1,1,1] row_mask:0xf bank_mask:0xf// 000000007588: 068A8AFA FF00557E
	v_mfma_f32_16x16x16_f16 v[200:203], v[92:93], v[124:125], v[200:203]// 000000007590: D3CD00C8 0722F95C
	v_permlane16_swap_b32_e32 v100, v102                       // 000000007598: 7EC8B366
	v_permlane16_swap_b32_e32 v101, v103                       // 00000000759C: 7ECAB367
	v_subrev_f32_dpp v70, v126, v70 quad_perm:[2,2,2,2] row_mask:0xf bank_mask:0xf// 0000000075A0: 068C8CFA FF00AA7E
	v_subrev_f32_dpp v71, v126, v71 quad_perm:[3,3,3,3] row_mask:0xf bank_mask:0xf// 0000000075A8: 068E8EFA FF00FF7E
	v_mfma_f32_16x16x16_f16 v[204:207], v[94:95], v[124:125], v[204:207]// 0000000075B0: D3CD00CC 0732F95E
	v_permlane16_swap_b32_e32 v60, v62                         // 0000000075B8: 7E78B33E
	v_permlane16_swap_b32_e32 v61, v63                         // 0000000075BC: 7E7AB33F
	v_mfma_f32_16x16x16_f16 v[208:211], v[96:97], v[124:125], v[208:211]// 0000000075C0: D3CD00D0 0742F960
	ds_read_b64_tr_b16 a[20:21], v19 offset:61440              // 0000000075C8: DBC6F000 14000013
	ds_read_b64_tr_b16 a[22:23], v19 offset:61696              // 0000000075D0: DBC6F100 16000013
	ds_read_b64_tr_b16 a[24:25], v20                           // 0000000075D8: DBC60000 18000014
	v_mfma_f32_16x16x16_f16 v[212:215], v[98:99], v[124:125], v[212:215]// 0000000075E0: D3CD00D4 0752F962
	v_mul_f32_e32 v68, v44, v68                                // 0000000075E8: 0A88892C
	v_mul_f32_e32 v69, v45, v69                                // 0000000075EC: 0A8A8B2D
	v_mul_f32_e32 v70, v46, v70                                // 0000000075F0: 0A8C8D2E
	v_mfma_f32_16x16x16_f16 v[216:219], v[100:101], v[124:125], v[216:219]// 0000000075F4: D3CD00D8 0762F964
	ds_read_b32 v126, v16 offset:37888                         // 0000000075FC: D86C9400 7E000010
	ds_read_b64_tr_b16 a[26:27], v20 offset:256                // 000000007604: DBC60100 1A000014
	ds_read_b64_tr_b16 a[28:29], v20 offset:12288              // 00000000760C: DBC63000 1C000014
	v_mfma_f32_16x16x16_f16 v[220:223], v[102:103], v[124:125], v[220:223]// 000000007614: D3CD00DC 0772F966
	v_mul_f32_e32 v71, v47, v71                                // 00000000761C: 0A8E8F2F
	v_cvt_pk_f16_f32 v64, v68, v69                             // 000000007620: D2670040 00028B44
	v_cvt_pk_f16_f32 v65, v70, v71                             // 000000007628: D2670041 00028F46
	s_waitcnt lgkmcnt(8)                                       // 000000007630: BF8CC87F
	v_mfma_f32_32x32x16_f16 a[112:127], v[224:227], v[60:63], a[112:127]// 000000007634: D3D58070 05C279E0
	ds_read_b64_tr_b16 a[30:31], v20 offset:12544              // 00000000763C: DBC63100 1E000014
	ds_write_b64 v15, v[64:65] offset:35328                    // 000000007644: D89A8A00 0000400F
	ds_read_b64_tr_b16 a[32:33], v20 offset:24576              // 00000000764C: DBC66000 20000014
	ds_read_b64_tr_b16 a[34:35], v20 offset:24832              // 000000007654: DBC66100 22000014
	v_mfma_f32_32x32x16_f16 a[128:143], v[228:231], v[60:63], a[128:143]// 00000000765C: D3D58080 060279E4
	v_mul_f32_e32 v104, s48, v104                              // 000000007664: 0AD0D030
	buffer_atomic_add_f32 v114, v9, s[32:35], 0 offen offset:64// 000000007668: E1341040 80087209
	v_mfma_f32_32x32x16_f16 a[144:159], v[232:235], v[60:63], a[144:159]// 000000007670: D3D58090 064279E8
	ds_read_b64_tr_b16 a[36:37], v20 offset:36864              // 000000007678: DBC69000 24000014
	ds_read_b64_tr_b16 a[38:39], v20 offset:37120              // 000000007680: DBC69100 26000014
	ds_read_b64_tr_b16 a[40:41], v20 offset:49152              // 000000007688: DBC6C000 28000014
	ds_read_b64_tr_b16 a[42:43], v20 offset:49408              // 000000007690: DBC6C100 2A000014
	ds_read_b64_tr_b16 a[44:45], v20 offset:61440              // 000000007698: DBC6F000 2C000014
	ds_read_b64_tr_b16 a[46:47], v20 offset:61696              // 0000000076A0: DBC6F100 2E000014
	v_mfma_f32_32x32x16_f16 a[160:175], v[236:239], v[60:63], a[160:175]// 0000000076A8: D3D580A0 068279EC
	.long 0x7fc0b3e2                                           // 0000000076B0: 7FC0B3E2
	.long 0x7fc2b3e3                                           // 0000000076B4: 7FC2B3E3
	buffer_atomic_add_f32 v115, v10, s[32:35], 0 offen offset:64// 0000000076B8: E1341040 8008730A
	s_waitcnt lgkmcnt(8)                                       // 0000000076C0: BF8CC87F
	s_barrier                                                  // 0000000076C4: BF8A0000
	v_mfma_f32_32x32x16_f16 a[176:191], v[240:243], v[60:63], a[176:191]// 0000000076C8: D3D580B0 06C279F0
	ds_read_b64_tr_b16 v[36:37], v14 offset:30720              // 0000000076D0: D9C67800 2400000E
	ds_read_b64_tr_b16 v[38:39], v14 offset:30752              // 0000000076D8: D9C67820 2600000E
	ds_read_b64_tr_b16 v[40:41], v14 offset:31872              // 0000000076E0: D9C67C80 2800000E
	ds_read_b64_tr_b16 v[42:43], v14 offset:31904              // 0000000076E8: D9C67CA0 2A00000E
	ds_read_b64_tr_b16 v[44:45], v14 offset:33024              // 0000000076F0: D9C68100 2C00000E
	ds_read_b64_tr_b16 v[46:47], v14 offset:33056              // 0000000076F8: D9C68120 2E00000E
	v_mfma_f32_32x32x16_f16 a[192:207], v[244:247], v[60:63], a[192:207]// 000000007700: D3D580C0 070279F4
	.long 0x7fc8b3e6                                           // 000000007708: 7FC8B3E6
	.long 0x7fcab3e7                                           // 00000000770C: 7FCAB3E7
	v_mov_b32_dpp v107, v104 quad_perm:[3,3,3,3] row_mask:0xf bank_mask:0xf// 000000007710: 7ED602FA FF00FF68
	v_mov_b32_dpp v106, v104 quad_perm:[2,2,2,2] row_mask:0xf bank_mask:0xf// 000000007718: 7ED402FA FF00AA68
	buffer_atomic_add_f32 v116, v7, s[32:35], 0 offen offset:128// 000000007720: E1341080 80087407
	v_mfma_f32_16x16x16_f16 a[208:211], v[224:225], v[64:65], a[208:211]// 000000007728: D3CD80D0 074281E0
	ds_read_b64_tr_b16 v[48:49], v14 offset:34176              // 000000007730: D9C68580 3000000E
	ds_read_b64_tr_b16 v[50:51], v14 offset:34208              // 000000007738: D9C685A0 3200000E
	ds_read_b64_tr_b16 v[52:53], v14 offset:35328              // 000000007740: D9C68A00 3400000E
	v_mfma_f32_16x16x16_f16 a[212:215], v[226:227], v[64:65], a[212:215]// 000000007748: D3CD80D4 075281E2
	.long 0x7fd0b3ea                                           // 000000007750: 7FD0B3EA
	.long 0x7fd2b3eb                                           // 000000007754: 7FD2B3EB
	v_mfma_f32_16x16x16_f16 a[216:219], v[228:229], v[64:65], a[216:219]// 000000007758: D3CD80D8 076281E4
	ds_read_b64_tr_b16 v[54:55], v14 offset:35360              // 000000007760: D9C68A20 3600000E
	ds_read_b64_tr_b16 v[56:57], v14 offset:36480              // 000000007768: D9C68E80 3800000E
	ds_read_b64_tr_b16 v[58:59], v14 offset:36512              // 000000007770: D9C68EA0 3A00000E
	v_mfma_f32_16x16x16_f16 a[220:223], v[230:231], v[64:65], a[220:223]// 000000007778: D3CD80DC 077281E6
	v_permlane16_swap_b32_e32 v236, v238                       // 000000007780: 7FD8B3EE
	v_permlane16_swap_b32_e32 v237, v239                       // 000000007784: 7FDAB3EF
	buffer_atomic_add_f32 v117, v8, s[32:35], 0 offen offset:128// 000000007788: E1341080 80087508
	v_mfma_f32_16x16x16_f16 a[224:227], v[232:233], v[64:65], a[224:227]// 000000007790: D3CD80E0 078281E8
	ds_read_b64_tr_b16 a[48:49], v21                           // 000000007798: DBC60000 30000015
	ds_read_b64_tr_b16 a[50:51], v21 offset:256                // 0000000077A0: DBC60100 32000015
	ds_read_b64_tr_b16 a[52:53], v21 offset:12288              // 0000000077A8: DBC63000 34000015
	v_mfma_f32_16x16x16_f16 a[228:231], v[234:235], v[64:65], a[228:231]// 0000000077B0: D3CD80E4 079281EA
	v_permlane16_swap_b32_e32 v240, v242                       // 0000000077B8: 7FE0B3F2
	v_permlane16_swap_b32_e32 v241, v243                       // 0000000077BC: 7FE2B3F3
	v_mfma_f32_16x16x16_f16 a[232:235], v[236:237], v[64:65], a[232:235]// 0000000077C0: D3CD80E8 07A281EC
	ds_read_b64_tr_b16 a[54:55], v21 offset:12544              // 0000000077C8: DBC63100 36000015
	ds_read_b64_tr_b16 a[56:57], v21 offset:24576              // 0000000077D0: DBC66000 38000015
	ds_read_b64_tr_b16 a[58:59], v21 offset:24832              // 0000000077D8: DBC66100 3A000015
	v_mfma_f32_16x16x16_f16 a[236:239], v[238:239], v[64:65], a[236:239]// 0000000077E0: D3CD80EC 07B281EE
	v_permlane16_swap_b32_e32 v244, v246                       // 0000000077E8: 7FE8B3F6
	v_permlane16_swap_b32_e32 v245, v247                       // 0000000077EC: 7FEAB3F7
	v_mfma_f32_16x16x16_f16 a[240:243], v[240:241], v[64:65], a[240:243]// 0000000077F0: D3CD80F0 07C281F0
	ds_read_b64_tr_b16 a[60:61], v21 offset:36864              // 0000000077F8: DBC69000 3C000015
	ds_read_b64_tr_b16 a[62:63], v21 offset:37120              // 000000007800: DBC69100 3E000015
	ds_read_b64_tr_b16 v[248:249], v21 offset:49152            // 000000007808: D9C6C000 F8000015
	v_mfma_f32_16x16x16_f16 a[244:247], v[242:243], v[64:65], a[244:247]// 000000007810: D3CD80F4 07D281F2
	v_mov_b32_dpp v105, v104 quad_perm:[1,1,1,1] row_mask:0xf bank_mask:0xf// 000000007818: 7ED202FA FF005568
	buffer_atomic_add_f32 v118, v9, s[32:35], 0 offen offset:128// 000000007820: E1341080 80087609
	v_mfma_f32_16x16x16_f16 a[248:251], v[244:245], v[64:65], a[248:251]// 000000007828: D3CD80F8 07E281F4
	ds_read_b64_tr_b16 v[250:251], v21 offset:49408            // 000000007830: D9C6C100 FA000015
	ds_read_b64_tr_b16 v[252:253], v21 offset:61440            // 000000007838: D9C6F000 FC000015
	ds_read_b64_tr_b16 v[254:255], v21 offset:61696            // 000000007840: D9C6F100 FE000015
	v_mfma_f32_16x16x16_f16 a[252:255], v[246:247], v[64:65], a[252:255]// 000000007848: D3CD80FC 07F281F6
	v_mov_b32_dpp v104, v104 quad_perm:[0,0,0,0] row_mask:0xf bank_mask:0xf// 000000007850: 7ED002FA FF000068
	buffer_atomic_add_f32 v119, v10, s[32:35], 0 offen offset:128// 000000007858: E1341080 8008770A
	s_waitcnt vmcnt(12) lgkmcnt(6)                             // 000000007860: BF8C067C
	s_barrier                                                  // 000000007864: BF8A0000
	v_mfma_f32_16x16x32_f16 v[108:111], v[36:39], a[0:3], 0    // 000000007868: D3D4006C 12020124
	ds_read_b128 v[224:227], v12                               // 000000007870: D9FE0000 E000000C
	ds_read_b128 v[228:231], v12 offset:1024                   // 000000007878: D9FE0400 E400000C
	v_mfma_f32_16x16x32_f16 v[108:111], v[40:43], a[4:7], v[108:111]// 000000007880: D3D4006C 15B20928
	s_mov_b32 m0, s87                                          // 000000007888: BEFC0057
	buffer_load_dwordx4 v1, s[8:11], 0 idxen lds               // 00000000788C: E05D2000 80020001
	v_mfma_f32_16x16x32_f16 v[108:111], v[44:47], a[8:11], v[108:111]// 000000007894: D3D4006C 15B2112C
	ds_read_b128 v[232:235], v12 offset:2048                   // 00000000789C: D9FE0800 E800000C
	ds_read_b128 v[236:239], v12 offset:3072                   // 0000000078A4: D9FE0C00 EC00000C
	v_mfma_f32_16x16x32_f16 v[108:111], v[48:51], a[12:15], v[108:111]// 0000000078AC: D3D4006C 15B21930
	s_mov_b32 m0, s88                                          // 0000000078B4: BEFC0058
	buffer_load_dword v2, s[8:11], 0 idxen lds                 // 0000000078B8: E0512000 80020002
	v_mfma_f32_16x16x32_f16 v[108:111], v[52:55], a[16:19], v[108:111]// 0000000078C0: D3D4006C 15B22134
	ds_read_b128 v[240:243], v12 offset:4096                   // 0000000078C8: D9FE1000 F000000C
	ds_read_b128 v[244:247], v12 offset:5120                   // 0000000078D0: D9FE1400 F400000C
	v_mfma_f32_16x16x32_f16 v[108:111], v[56:59], a[20:23], v[108:111]// 0000000078D8: D3D4006C 15B22938
	s_mov_b32 m0, s89                                          // 0000000078E0: BEFC0059
	buffer_load_dword v3, s[8:11], 0 idxen lds                 // 0000000078E4: E0512000 80020003
	v_mfma_f32_16x16x32_f16 v[112:115], v[36:39], a[24:27], 0  // 0000000078EC: D3D40070 12023124
	ds_read_b128 a[0:3], v17                                   // 0000000078F4: DBFE0000 00000011
	ds_read_b128 a[4:7], v17 offset:1024                       // 0000000078FC: DBFE0400 04000011
	v_mfma_f32_16x16x32_f16 v[112:115], v[40:43], a[28:31], v[112:115]// 000000007904: D3D40070 15C23928
	s_mov_b32 m0, s101                                         // 00000000790C: BEFC0065
	buffer_load_dwordx4 v4, s[20:23], 0 idxen lds              // 000000007910: E05D2000 80050004
	v_mfma_f32_16x16x32_f16 v[112:115], v[44:47], a[32:35], v[112:115]// 000000007918: D3D40070 15C2412C
	ds_read_b128 a[8:11], v17 offset:2048                      // 000000007920: DBFE0800 08000011
	ds_read_b128 a[12:15], v17 offset:3072                     // 000000007928: DBFE0C00 0C000011
	v_mfma_f32_16x16x32_f16 v[112:115], v[48:51], a[36:39], v[112:115]// 000000007930: D3D40070 15C24930
	v_mul_f32_e32 v108, s47, v108                              // 000000007938: 0AD8D82F
	v_mul_f32_e32 v109, s47, v109                              // 00000000793C: 0ADADA2F
	s_mov_b32 m0, s80                                          // 000000007940: BEFC0050
	buffer_load_dword v11, s[24:27], 0 idxen lds               // 000000007944: E0512000 8006000B
	v_mfma_f32_16x16x32_f16 v[112:115], v[52:55], a[40:43], v[112:115]// 00000000794C: D3D40070 15C25134
	ds_read_b128 a[16:19], v17 offset:4096                     // 000000007954: DBFE1000 10000011
	ds_read_b128 a[20:23], v17 offset:5120                     // 00000000795C: DBFE1400 14000011
	v_mfma_f32_16x16x32_f16 v[112:115], v[56:59], a[44:47], v[112:115]// 000000007964: D3D40070 15C25938
	s_add_u32 s60, 64, s59                                     // 00000000796C: 803C3BC0
	s_cmp_lt_u32 s60, s58                                      // 000000007970: BF0A3A3C
	s_cselect_b32 s68, s68, 0                                  // 000000007974: 85448044
	s_cselect_b32 s98, s98, 0                                  // 000000007978: 85628062
	s_cselect_b32 s69, s69, 0                                  // 00000000797C: 85458045
	v_mfma_f32_16x16x32_f16 v[116:119], v[36:39], a[48:51], 0  // 000000007980: D3D40074 12026124
	ds_read_b128 a[24:27], v17 offset:24576                    // 000000007988: DBFE6000 18000011
	ds_read_b128 a[28:31], v17 offset:25600                    // 000000007990: DBFE6400 1C000011
	v_mfma_f32_16x16x32_f16 v[116:119], v[40:43], a[52:55], v[116:119]// 000000007998: D3D40074 15D26928
	v_add_u32_e32 v1, s68, v1                                  // 0000000079A0: 68020244
	v_add_u32_e32 v2, s68, v2                                  // 0000000079A4: 68040444
	v_add_u32_e32 v3, s68, v3                                  // 0000000079A8: 68060644
	v_add_u32_e32 v4, s98, v4                                  // 0000000079AC: 68080862
	v_add_u32_e32 v11, s69, v11                                // 0000000079B0: 68161645
	s_waitcnt lgkmcnt(14)                                      // 0000000079B4: BF8CCE7F
	v_mfma_f32_16x16x32_f16 v[116:119], v[44:47], a[56:59], v[116:119]// 0000000079B8: D3D40074 15D2712C
	ds_read_b128 a[32:35], v17 offset:26624                    // 0000000079C0: DBFE6800 20000011
	ds_read_b128 a[36:39], v17 offset:27648                    // 0000000079C8: DBFE6C00 24000011
	v_mfma_f32_16x16x32_f16 v[116:119], v[48:51], a[60:63], v[116:119]// 0000000079D0: D3D40074 15D27930
	v_mul_f32_e32 v110, s47, v110                              // 0000000079D8: 0ADCDC2F
	v_mul_f32_e32 v111, s47, v111                              // 0000000079DC: 0ADEDE2F
	s_cmp_ge_u32 s59, s73                                      // 0000000079E0: BF09493B
	s_cselect_b32 s66, s67, s66                                // 0000000079E4: 85424243
	v_mfma_f32_16x16x32_f16 v[116:119], v[52:55], v[248:251], v[116:119]// 0000000079E8: D3D40074 05D3F134
	ds_read_b128 a[40:43], v17 offset:28672                    // 0000000079F0: DBFE7000 28000011
	ds_read_b128 a[44:47], v17 offset:29696                    // 0000000079F8: DBFE7400 2C000011
	v_mfma_f32_16x16x32_f16 v[116:119], v[56:59], v[252:255], v[116:119]// 000000007A00: D3D40074 05D3F938
	s_addk_i32 s59, 0x10                                       // 000000007A08: B73B0010
	v_mul_f32_e32 v112, s47, v112                              // 000000007A0C: 0AE0E02F
	v_mul_f32_e32 v113, s47, v113                              // 000000007A10: 0AE2E22F
	s_cmp_lt_i32 s59, s58                                      // 000000007A14: BF043A3B
	s_cbranch_scc0 label_0E97                                  // 000000007A18: BF840001
	s_branch label_0623                                        // 000000007A1C: BF82F79B

0000000000007a20 <label_0E97>:
	s_nop 0                                                    // 000000007A20: BF800000
	s_nop 0                                                    // 000000007A24: BF800000
	s_branch label_170E                                        // 000000007A28: BF820865

0000000000007a2c <label_0E9A>:
	s_waitcnt lgkmcnt(2)                                       // 000000007A2C: BF8CC27F
	v_mfma_f32_16x16x32_f16 v[36:39], v[224:227], a[0:3], 0    // 000000007A30: D3D40024 120201E0
	v_add_u32_e32 v7, s66, v7                                  // 000000007A38: 680E0E42
	v_add_u32_e32 v8, s66, v8                                  // 000000007A3C: 68101042
	v_mfma_f32_16x16x32_f16 v[36:39], v[228:231], a[4:7], v[36:39]// 000000007A40: D3D40024 149209E4
	ds_read_b128 a[48:51], v17 offset:49152                    // 000000007A48: DBFEC000 30000011
	ds_read_b128 a[52:55], v17 offset:50176                    // 000000007A50: DBFEC400 34000011
	v_mfma_f32_16x16x32_f16 v[36:39], v[232:235], a[8:11], v[36:39]// 000000007A58: D3D40024 149211E8
	v_add_u32_e32 v9, s66, v9                                  // 000000007A60: 68121242
	v_add_u32_e32 v10, s66, v10                                // 000000007A64: 68141442
	v_mfma_f32_16x16x32_f16 v[36:39], v[236:239], a[12:15], v[36:39]// 000000007A68: D3D40024 149219EC
	ds_read_b128 a[56:59], v17 offset:51200                    // 000000007A70: DBFEC800 38000011
	ds_read_b128 a[60:63], v17 offset:52224                    // 000000007A78: DBFECC00 3C000011
	v_mfma_f32_16x16x32_f16 v[36:39], v[240:243], a[16:19], v[36:39]// 000000007A80: D3D40024 149221F0
	v_mul_f32_e32 v114, s47, v114                              // 000000007A88: 0AE4E42F
	v_mul_f32_e32 v115, s47, v115                              // 000000007A8C: 0AE6E62F
	v_mfma_f32_16x16x32_f16 v[36:39], v[244:247], a[20:23], v[36:39]// 000000007A90: D3D40024 149229F4
	ds_read_b128 v[248:251], v17 offset:53248                  // 000000007A98: D9FED000 F8000011
	ds_read_b128 v[252:255], v17 offset:54272                  // 000000007AA0: D9FED400 FC000011
	v_mfma_f32_16x16x32_f16 v[40:43], v[224:227], a[24:27], 0  // 000000007AA8: D3D40028 120231E0
	v_mul_f32_e32 v116, s47, v116                              // 000000007AB0: 0AE8E82F
	v_mul_f32_e32 v117, s47, v117                              // 000000007AB4: 0AEAEA2F
	v_mfma_f32_16x16x32_f16 v[40:43], v[228:231], a[28:31], v[40:43]// 000000007AB8: D3D40028 14A239E4
	ds_read_b128 v[72:75], v12 offset:18432                    // 000000007AC0: D9FE4800 4800000C
	ds_read_b128 v[76:79], v12 offset:19456                    // 000000007AC8: D9FE4C00 4C00000C
	v_mfma_f32_16x16x32_f16 v[40:43], v[232:235], a[32:35], v[40:43]// 000000007AD0: D3D40028 14A241E8
	v_mul_f32_e32 v118, s47, v118                              // 000000007AD8: 0AECEC2F
	v_mul_f32_e32 v119, s47, v119                              // 000000007ADC: 0AEEEE2F
	buffer_atomic_add_f32 v108, v7, s[32:35], 0 offen          // 000000007AE0: E1341000 80086C07
	v_mfma_f32_16x16x32_f16 v[40:43], v[236:239], a[36:39], v[40:43]// 000000007AE8: D3D40028 14A249EC
	ds_read_b128 v[80:83], v12 offset:20480                    // 000000007AF0: D9FE5000 5000000C
	ds_read_b128 v[84:87], v12 offset:21504                    // 000000007AF8: D9FE5400 5400000C
	s_waitcnt lgkmcnt(10)                                      // 000000007B00: BF8CCA7F
	v_mfma_f32_16x16x32_f16 v[40:43], v[240:243], a[40:43], v[40:43]// 000000007B04: D3D40028 14A251F0
	v_fma_f32 v36, v36, s57, -v104                             // 000000007B0C: D1CB0024 85A07324
	v_fma_f32 v37, v37, s57, -v105                             // 000000007B14: D1CB0025 85A47325
	v_mfma_f32_16x16x32_f16 v[40:43], v[244:247], a[44:47], v[40:43]// 000000007B1C: D3D40028 14A259F4
	ds_read_b64_tr_b16 v[88:89], v13 offset:18432              // 000000007B24: D9C64800 5800000D
	ds_read_b64_tr_b16 v[90:91], v13 offset:18688              // 000000007B2C: D9C64900 5A00000D
	s_waitcnt lgkmcnt(10)                                      // 000000007B34: BF8CCA7F
	v_mfma_f32_16x16x32_f16 v[44:47], v[224:227], a[48:51], 0  // 000000007B38: D3D4002C 120261E0
	v_fma_f32 v38, v38, s57, -v106                             // 000000007B40: D1CB0026 85A87326
	v_fma_f32 v39, v39, s57, -v107                             // 000000007B48: D1CB0027 85AC7327
	v_mfma_f32_16x16x32_f16 v[44:47], v[228:231], a[52:55], v[44:47]// 000000007B50: D3D4002C 14B269E4
	ds_read_b64_tr_b16 v[92:93], v13 offset:19456              // 000000007B58: D9C64C00 5C00000D
	ds_read_b64_tr_b16 v[94:95], v13 offset:19712              // 000000007B60: D9C64D00 5E00000D
	s_waitcnt lgkmcnt(10)                                      // 000000007B68: BF8CCA7F
	v_mfma_f32_16x16x32_f16 v[44:47], v[232:235], a[56:59], v[44:47]// 000000007B6C: D3D4002C 14B271E8
	v_fma_f32 v40, v40, s57, -v104                             // 000000007B74: D1CB0028 85A07328
	v_fma_f32 v41, v41, s57, -v105                             // 000000007B7C: D1CB0029 85A47329
	buffer_atomic_add_f32 v109, v8, s[32:35], 0 offen          // 000000007B84: E1341000 80086D08
	v_mfma_f32_16x16x32_f16 v[44:47], v[236:239], a[60:63], v[44:47]// 000000007B8C: D3D4002C 14B279EC
	ds_read_b64_tr_b16 v[96:97], v13 offset:20480              // 000000007B94: D9C65000 6000000D
	ds_read_b64_tr_b16 v[98:99], v13 offset:20736              // 000000007B9C: D9C65100 6200000D
	s_waitcnt lgkmcnt(10)                                      // 000000007BA4: BF8CCA7F
	v_mfma_f32_16x16x32_f16 v[44:47], v[240:243], v[248:251], v[44:47]// 000000007BA8: D3D4002C 04B3F1F0
	v_fma_f32 v42, v42, s57, -v106                             // 000000007BB0: D1CB002A 85A8732A
	v_fma_f32 v43, v43, s57, -v107                             // 000000007BB8: D1CB002B 85AC732B
	v_mfma_f32_16x16x32_f16 v[44:47], v[244:247], v[252:255], v[44:47]// 000000007BC0: D3D4002C 04B3F9F4
	ds_read_b64_tr_b16 v[100:101], v13 offset:21504            // 000000007BC8: D9C65400 6400000D
	ds_read_b64_tr_b16 v[102:103], v13 offset:21760            // 000000007BD0: D9C65500 6600000D
	s_cmp_eq_i32 s90, 0                                        // 000000007BD8: BF00805A
	s_cbranch_scc1 label_0F9B                                  // 000000007BDC: BF85008F
	s_cmp_lt_i32 s74, 12                                       // 000000007BE0: BF048C4A
	s_cbranch_scc0 label_0F46                                  // 000000007BE4: BF84003D
	s_lshl_b32 s60, s74, 4                                     // 000000007BE8: 8E3C844A
	v_sub_i32 v32, v24, s60                                    // 000000007BEC: D29D0020 00007918
	s_mov_b32 s61, 0                                           // 000000007BF4: BEBD0080
	v_add_i32 v33, v32, s61                                    // 000000007BF8: D29C0021 00007B20
	v_cmp_gt_i32_e64 s[60:61], v33, 0                          // 000000007C00: D0C4003C 00010121
	v_cmp_gt_i32_e64 s[92:93], v33, 1                          // 000000007C08: D0C4005C 00010321
	v_cndmask_b32_e64 v36, v36, v127, s[60:61]                 // 000000007C10: D1000024 00F2FF24
	v_cndmask_b32_e64 v37, v37, v127, s[92:93]                 // 000000007C18: D1000025 0172FF25
	v_cmp_gt_i32_e64 s[60:61], v33, 2                          // 000000007C20: D0C4003C 00010521
	v_cmp_gt_i32_e64 s[92:93], v33, 3                          // 000000007C28: D0C4005C 00010721
	v_cndmask_b32_e64 v38, v38, v127, s[60:61]                 // 000000007C30: D1000026 00F2FF26
	v_cndmask_b32_e64 v39, v39, v127, s[92:93]                 // 000000007C38: D1000027 0172FF27
	s_mov_b32 s61, 64                                          // 000000007C40: BEBD00C0
	v_add_i32 v33, v32, s61                                    // 000000007C44: D29C0021 00007B20
	v_cmp_gt_i32_e64 s[60:61], v33, 0                          // 000000007C4C: D0C4003C 00010121
	v_cmp_gt_i32_e64 s[92:93], v33, 1                          // 000000007C54: D0C4005C 00010321
	v_cndmask_b32_e64 v40, v40, v127, s[60:61]                 // 000000007C5C: D1000028 00F2FF28
	v_cndmask_b32_e64 v41, v41, v127, s[92:93]                 // 000000007C64: D1000029 0172FF29
	v_cmp_gt_i32_e64 s[60:61], v33, 2                          // 000000007C6C: D0C4003C 00010521
	v_cmp_gt_i32_e64 s[92:93], v33, 3                          // 000000007C74: D0C4005C 00010721
	v_cndmask_b32_e64 v42, v42, v127, s[60:61]                 // 000000007C7C: D100002A 00F2FF2A
	v_cndmask_b32_e64 v43, v43, v127, s[92:93]                 // 000000007C84: D100002B 0172FF2B
	s_mov_b32 s61, 0x80                                        // 000000007C8C: BEBD00FF 00000080
	v_add_i32 v33, v32, s61                                    // 000000007C94: D29C0021 00007B20
	v_cmp_gt_i32_e64 s[60:61], v33, 0                          // 000000007C9C: D0C4003C 00010121
	v_cmp_gt_i32_e64 s[92:93], v33, 1                          // 000000007CA4: D0C4005C 00010321
	v_cndmask_b32_e64 v44, v44, v127, s[60:61]                 // 000000007CAC: D100002C 00F2FF2C
	v_cndmask_b32_e64 v45, v45, v127, s[92:93]                 // 000000007CB4: D100002D 0172FF2D
	v_cmp_gt_i32_e64 s[60:61], v33, 2                          // 000000007CBC: D0C4003C 00010521
	v_cmp_gt_i32_e64 s[92:93], v33, 3                          // 000000007CC4: D0C4005C 00010721
	v_cndmask_b32_e64 v46, v46, v127, s[60:61]                 // 000000007CCC: D100002E 00F2FF2E
	v_cndmask_b32_e64 v47, v47, v127, s[92:93]                 // 000000007CD4: D100002F 0172FF2F

0000000000007cdc <label_0F46>:
	s_cmp_lt_i32 s64, 0xc0                                     // 000000007CDC: BF04FF40 000000C0
	s_cbranch_scc0 label_0F9B                                  // 000000007CE4: BF84004D
	s_cmp_le_i32 s64, 64                                       // 000000007CE8: BF05C040
	s_cbranch_scc1 label_0F52                                  // 000000007CEC: BF850007
	s_cmp_le_i32 s64, 0x80                                     // 000000007CF0: BF05FF40 00000080
	s_cbranch_scc1 label_0F6A                                  // 000000007CF8: BF850017
	s_cmp_lt_i32 s64, 0xc0                                     // 000000007CFC: BF04FF40 000000C0
	s_cbranch_scc1 label_0F82                                  // 000000007D04: BF85002C
	s_branch label_0F9B                                        // 000000007D08: BF820044

0000000000007d0c <label_0F52>:
	s_mov_b32 s60, 0                                           // 000000007D0C: BEBC0080
	v_and_b32_e32 v32, 15, v0                                  // 000000007D10: 2640008F
	v_add_u32_e64 v32, v32, s60                                // 000000007D14: D1340020 00007920
	v_mul_i32_i24_e64 v33, s46, 16                             // 000000007D1C: D1060021 0001202E
	v_add_u32_e32 v32, v32, v33                                // 000000007D24: 68404320
	v_cmp_lt_u32_e64 s[60:61], v32, s64                        // 000000007D28: D0C9003C 00008120
	s_nop 1                                                    // 000000007D30: BF800001
	v_cndmask_b32_e64 v36, v127, v36, s[60:61]                 // 000000007D34: D1000024 00F2497F
	v_cndmask_b32_e64 v37, v127, v37, s[60:61]                 // 000000007D3C: D1000025 00F24B7F
	v_cndmask_b32_e64 v38, v127, v38, s[60:61]                 // 000000007D44: D1000026 00F24D7F
	v_cndmask_b32_e64 v39, v127, v39, s[60:61]                 // 000000007D4C: D1000027 00F24F7F
	s_branch label_0F7D                                        // 000000007D54: BF820013

0000000000007d58 <label_0F6A>:
	s_mov_b32 s60, 64                                          // 000000007D58: BEBC00C0
	v_and_b32_e32 v32, 15, v0                                  // 000000007D5C: 2640008F
	v_add_u32_e64 v32, v32, s60                                // 000000007D60: D1340020 00007920
	v_mul_i32_i24_e64 v33, s46, 16                             // 000000007D68: D1060021 0001202E
	v_add_u32_e32 v32, v32, v33                                // 000000007D70: 68404320
	v_cmp_lt_u32_e64 s[60:61], v32, s64                        // 000000007D74: D0C9003C 00008120
	s_nop 1                                                    // 000000007D7C: BF800001
	v_cndmask_b32_e64 v40, v127, v40, s[60:61]                 // 000000007D80: D1000028 00F2517F
	v_cndmask_b32_e64 v41, v127, v41, s[60:61]                 // 000000007D88: D1000029 00F2537F
	v_cndmask_b32_e64 v42, v127, v42, s[60:61]                 // 000000007D90: D100002A 00F2557F
	v_cndmask_b32_e64 v43, v127, v43, s[60:61]                 // 000000007D98: D100002B 00F2577F
	s_branch label_0F96                                        // 000000007DA0: BF820019

0000000000007da4 <label_0F7D>:
	v_mov_b32_e32 v40, v127                                    // 000000007DA4: 7E50037F
	v_mov_b32_e32 v41, v127                                    // 000000007DA8: 7E52037F
	v_mov_b32_e32 v42, v127                                    // 000000007DAC: 7E54037F
	v_mov_b32_e32 v43, v127                                    // 000000007DB0: 7E56037F
	s_branch label_0F96                                        // 000000007DB4: BF820014

0000000000007db8 <label_0F82>:
	s_mov_b32 s60, 0x80                                        // 000000007DB8: BEBC00FF 00000080
	v_and_b32_e32 v32, 15, v0                                  // 000000007DC0: 2640008F
	v_add_u32_e64 v32, v32, s60                                // 000000007DC4: D1340020 00007920
	v_mul_i32_i24_e64 v33, s46, 16                             // 000000007DCC: D1060021 0001202E
	v_add_u32_e32 v32, v32, v33                                // 000000007DD4: 68404320
	v_cmp_lt_u32_e64 s[60:61], v32, s64                        // 000000007DD8: D0C9003C 00008120
	s_nop 1                                                    // 000000007DE0: BF800001
	v_cndmask_b32_e64 v44, v127, v44, s[60:61]                 // 000000007DE4: D100002C 00F2597F
	v_cndmask_b32_e64 v45, v127, v45, s[60:61]                 // 000000007DEC: D100002D 00F25B7F
	v_cndmask_b32_e64 v46, v127, v46, s[60:61]                 // 000000007DF4: D100002E 00F25D7F
	v_cndmask_b32_e64 v47, v127, v47, s[60:61]                 // 000000007DFC: D100002F 00F25F7F
	s_branch label_0F9B                                        // 000000007E04: BF820005

0000000000007e08 <label_0F96>:
	v_mov_b32_e32 v44, v127                                    // 000000007E08: 7E58037F
	v_mov_b32_e32 v45, v127                                    // 000000007E0C: 7E5A037F
	v_mov_b32_e32 v46, v127                                    // 000000007E10: 7E5C037F
	v_mov_b32_e32 v47, v127                                    // 000000007E14: 7E5E037F
	s_branch label_0F9B                                        // 000000007E18: BF820000

0000000000007e1c <label_0F9B>:
	s_addk_i32 s74, 0x1                                        // 000000007E1C: B74A0001
	s_waitcnt lgkmcnt(8)                                       // 000000007E20: BF8CC87F
	v_mfma_f32_16x16x32_f16 v[60:63], v[72:75], a[64:67], 0    // 000000007E24: D3D4003C 12028148
	v_exp_f32_e32 v36, v36                                     // 000000007E2C: 7E484124
	v_exp_f32_e32 v37, v37                                     // 000000007E30: 7E4A4125
	v_mfma_f32_16x16x32_f16 v[60:63], v[76:79], a[68:71], v[60:63]// 000000007E34: D3D4003C 14F2894C
	v_exp_f32_e32 v38, v38                                     // 000000007E3C: 7E4C4126
	v_exp_f32_e32 v39, v39                                     // 000000007E40: 7E4E4127
	v_mfma_f32_16x16x32_f16 v[60:63], v[80:83], a[72:75], v[60:63]// 000000007E44: D3D4003C 14F29150
	v_fma_f32 v44, v44, s57, -v104                             // 000000007E4C: D1CB002C 85A0732C
	v_fma_f32 v45, v45, s57, -v105                             // 000000007E54: D1CB002D 85A4732D
	v_exp_f32_e32 v40, v40                                     // 000000007E5C: 7E504128
	v_exp_f32_e32 v41, v41                                     // 000000007E60: 7E524129
	buffer_atomic_add_f32 v110, v9, s[32:35], 0 offen          // 000000007E64: E1341000 80086E09
	v_mfma_f32_16x16x32_f16 v[60:63], v[84:87], a[76:79], v[60:63]// 000000007E6C: D3D4003C 14F29954
	ds_read_b64_tr_b16 v[224:225], v13                         // 000000007E74: D9C60000 E000000D
	ds_read_b64_tr_b16 v[226:227], v13 offset:256              // 000000007E7C: D9C60100 E200000D
	ds_read_b64_tr_b16 v[228:229], v13 offset:1024             // 000000007E84: D9C60400 E400000D
	ds_read_b64_tr_b16 v[230:231], v13 offset:1280             // 000000007E8C: D9C60500 E600000D
	v_mfma_f32_16x16x32_f16 v[64:67], v[72:75], a[80:83], 0    // 000000007E94: D3D40040 1202A148
	v_fma_f32 v46, v46, s57, -v106                             // 000000007E9C: D1CB002E 85A8732E
	v_fma_f32 v47, v47, s57, -v107                             // 000000007EA4: D1CB002F 85AC732F
	v_exp_f32_e32 v42, v42                                     // 000000007EAC: 7E54412A
	v_exp_f32_e32 v43, v43                                     // 000000007EB0: 7E56412B
	v_mfma_f32_16x16x32_f16 v[64:67], v[76:79], a[84:87], v[64:67]// 000000007EB4: D3D40040 1502A94C
	ds_read_b64_tr_b16 v[232:233], v13 offset:2048             // 000000007EBC: D9C60800 E800000D
	ds_read_b64_tr_b16 v[234:235], v13 offset:2304             // 000000007EC4: D9C60900 EA00000D
	ds_read_b64_tr_b16 v[236:237], v13 offset:3072             // 000000007ECC: D9C60C00 EC00000D
	ds_read_b64_tr_b16 v[238:239], v13 offset:3328             // 000000007ED4: D9C60D00 EE00000D
	v_mfma_f32_16x16x32_f16 v[64:67], v[80:83], a[88:91], v[64:67]// 000000007EDC: D3D40040 1502B150
	v_exp_f32_e32 v44, v44                                     // 000000007EE4: 7E58412C
	v_exp_f32_e32 v45, v45                                     // 000000007EE8: 7E5A412D
	v_mfma_f32_16x16x32_f16 v[64:67], v[84:87], a[92:95], v[64:67]// 000000007EEC: D3D40040 1502B954
	v_cvt_pk_f16_f32 v120, v36, v37                            // 000000007EF4: D2670078 00024B24
	v_cvt_pk_f16_f32 v121, v38, v39                            // 000000007EFC: D2670079 00024F26
	v_cvt_pk_f16_f32 v122, v40, v41                            // 000000007F04: D267007A 00025328
	v_cvt_pk_f16_f32 v123, v42, v43                            // 000000007F0C: D267007B 0002572A
	v_mfma_f32_16x16x32_f16 v[68:71], v[72:75], a[96:99], 0    // 000000007F14: D3D40044 1202C148
	v_exp_f32_e32 v46, v46                                     // 000000007F1C: 7E5C412E
	v_exp_f32_e32 v47, v47                                     // 000000007F20: 7E5E412F
	v_mfma_f32_16x16x32_f16 v[68:71], v[76:79], a[100:103], v[68:71]// 000000007F24: D3D40044 1512C94C
	v_permlane16_swap_b32_e32 v120, v122                       // 000000007F2C: 7EF0B37A
	v_permlane16_swap_b32_e32 v121, v123                       // 000000007F30: 7EF2B37B
	v_mfma_f32_16x16x32_f16 v[68:71], v[80:83], a[104:107], v[68:71]// 000000007F34: D3D40044 1512D150
	v_cvt_pk_f16_f32 v124, v44, v45                            // 000000007F3C: D267007C 00025B2C
	v_cvt_pk_f16_f32 v125, v46, v47                            // 000000007F44: D267007D 00025F2E
	buffer_atomic_add_f32 v111, v10, s[32:35], 0 offen         // 000000007F4C: E1341000 80086F0A
	v_mfma_f32_16x16x32_f16 v[68:71], v[84:87], a[108:111], v[68:71]// 000000007F54: D3D40044 1512D954
	ds_read_b64_tr_b16 v[240:241], v13 offset:4096             // 000000007F5C: D9C61000 F000000D
	ds_read_b64_tr_b16 v[242:243], v13 offset:4352             // 000000007F64: D9C61100 F200000D
	ds_read_b64_tr_b16 v[244:245], v13 offset:5120             // 000000007F6C: D9C61400 F400000D
	ds_read_b64_tr_b16 v[246:247], v13 offset:5376             // 000000007F74: D9C61500 F600000D
	s_waitcnt lgkmcnt(12)                                      // 000000007F7C: BF8CCC7F
	v_mfma_f32_32x32x16_f16 v[128:143], v[88:91], v[120:123], v[128:143]// 000000007F80: D3D50080 0602F158
	v_subrev_f32_dpp v60, v126, v60 quad_perm:[0,0,0,0] row_mask:0xf bank_mask:0xf// 000000007F88: 067878FA FF00007E
	v_subrev_f32_dpp v61, v126, v61 quad_perm:[1,1,1,1] row_mask:0xf bank_mask:0xf// 000000007F90: 067A7AFA FF00557E
	v_subrev_f32_dpp v62, v126, v62 quad_perm:[2,2,2,2] row_mask:0xf bank_mask:0xf// 000000007F98: 067C7CFA FF00AA7E
	v_subrev_f32_dpp v63, v126, v63 quad_perm:[3,3,3,3] row_mask:0xf bank_mask:0xf// 000000007FA0: 067E7EFA FF00FF7E
	v_subrev_f32_dpp v64, v126, v64 quad_perm:[0,0,0,0] row_mask:0xf bank_mask:0xf// 000000007FA8: 068080FA FF00007E
	v_subrev_f32_dpp v65, v126, v65 quad_perm:[1,1,1,1] row_mask:0xf bank_mask:0xf// 000000007FB0: 068282FA FF00557E
	v_subrev_f32_dpp v66, v126, v66 quad_perm:[2,2,2,2] row_mask:0xf bank_mask:0xf// 000000007FB8: 068484FA FF00AA7E
	v_subrev_f32_dpp v67, v126, v67 quad_perm:[3,3,3,3] row_mask:0xf bank_mask:0xf// 000000007FC0: 068686FA FF00FF7E
	v_mul_f32_e32 v60, v36, v60                                // 000000007FC8: 0A787924
	v_mul_f32_e32 v61, v37, v61                                // 000000007FCC: 0A7A7B25
	v_mul_f32_e32 v62, v38, v62                                // 000000007FD0: 0A7C7D26
	v_mul_f32_e32 v63, v39, v63                                // 000000007FD4: 0A7E7F27
	v_mfma_f32_32x32x16_f16 v[144:159], v[92:95], v[120:123], v[144:159]// 000000007FD8: D3D50090 0642F15C
	ds_read_b64_tr_b16 a[0:1], v19                             // 000000007FE0: DBC60000 00000013
	ds_read_b64_tr_b16 a[2:3], v19 offset:256                  // 000000007FE8: DBC60100 02000013
	ds_read_b64_tr_b16 a[4:5], v19 offset:12288                // 000000007FF0: DBC63000 04000013
	ds_read_b64_tr_b16 a[6:7], v19 offset:12544                // 000000007FF8: DBC63100 06000013
	ds_read_b64_tr_b16 a[8:9], v19 offset:24576                // 000000008000: DBC66000 08000013
	buffer_atomic_add_f32 v112, v7, s[32:35], 0 offen offset:64// 000000008008: E1341040 80087007
	v_mfma_f32_32x32x16_f16 v[160:175], v[96:99], v[120:123], v[160:175]// 000000008010: D3D500A0 0682F160
	v_mul_f32_e32 v64, v40, v64                                // 000000008018: 0A808128
	v_mul_f32_e32 v65, v41, v65                                // 00000000801C: 0A828329
	v_mul_f32_e32 v66, v42, v66                                // 000000008020: 0A84852A
	v_mul_f32_e32 v67, v43, v67                                // 000000008024: 0A86872B
	v_permlane16_swap_b32_e32 v88, v90                         // 000000008028: 7EB0B35A
	v_permlane16_swap_b32_e32 v89, v91                         // 00000000802C: 7EB2B35B
	v_cvt_pk_f16_f32 v60, v60, v61                             // 000000008030: D267003C 00027B3C
	v_cvt_pk_f16_f32 v61, v62, v63                             // 000000008038: D267003D 00027F3E
	v_cvt_pk_f16_f32 v62, v64, v65                             // 000000008040: D267003E 00028340
	v_cvt_pk_f16_f32 v63, v66, v67                             // 000000008048: D267003F 00028742
	v_permlane16_swap_b32_e32 v92, v94                         // 000000008050: 7EB8B35E
	v_permlane16_swap_b32_e32 v93, v95                         // 000000008054: 7EBAB35F
	v_mfma_f32_32x32x16_f16 v[176:191], v[100:103], v[120:123], v[176:191]// 000000008058: D3D500B0 06C2F164
	ds_read_b64_tr_b16 a[10:11], v19 offset:24832              // 000000008060: DBC66100 0A000013
	ds_read_b64_tr_b16 a[12:13], v19 offset:36864              // 000000008068: DBC69000 0C000013
	ds_read_b64_tr_b16 a[14:15], v19 offset:37120              // 000000008070: DBC69100 0E000013
	ds_read_b64_tr_b16 a[16:17], v19 offset:49152              // 000000008078: DBC6C000 10000013
	ds_read_b64_tr_b16 a[18:19], v19 offset:49408              // 000000008080: DBC6C100 12000013
	ds_read_b32 v104, v16 offset:38144                         // 000000008088: D86C9500 68000010
	v_mfma_f32_16x16x16_f16 v[192:195], v[88:89], v[124:125], v[192:195]// 000000008090: D3CD00C0 0702F958
	v_permlane16_swap_b32_e32 v96, v98                         // 000000008098: 7EC0B362
	v_permlane16_swap_b32_e32 v97, v99                         // 00000000809C: 7EC2B363
	v_subrev_f32_dpp v68, v126, v68 quad_perm:[0,0,0,0] row_mask:0xf bank_mask:0xf// 0000000080A0: 068888FA FF00007E
	v_subrev_f32_dpp v69, v126, v69 quad_perm:[1,1,1,1] row_mask:0xf bank_mask:0xf// 0000000080A8: 068A8AFA FF00557E
	v_mfma_f32_16x16x16_f16 v[196:199], v[90:91], v[124:125], v[196:199]// 0000000080B0: D3CD00C4 0712F95A
	buffer_atomic_add_f32 v113, v8, s[32:35], 0 offen offset:64// 0000000080B8: E1341040 80087108
	ds_write_b64 v15, v[60:61] offset:30720                    // 0000000080C0: D89A7800 00003C0F
	ds_write_b64 v15, v[62:63] offset:33024                    // 0000000080C8: D89A8100 00003E0F
	v_mfma_f32_16x16x16_f16 v[200:203], v[92:93], v[124:125], v[200:203]// 0000000080D0: D3CD00C8 0722F95C
	v_permlane16_swap_b32_e32 v100, v102                       // 0000000080D8: 7EC8B366
	v_permlane16_swap_b32_e32 v101, v103                       // 0000000080DC: 7ECAB367
	v_subrev_f32_dpp v70, v126, v70 quad_perm:[2,2,2,2] row_mask:0xf bank_mask:0xf// 0000000080E0: 068C8CFA FF00AA7E
	v_subrev_f32_dpp v71, v126, v71 quad_perm:[3,3,3,3] row_mask:0xf bank_mask:0xf// 0000000080E8: 068E8EFA FF00FF7E
	v_mfma_f32_16x16x16_f16 v[204:207], v[94:95], v[124:125], v[204:207]// 0000000080F0: D3CD00CC 0732F95E
	v_permlane16_swap_b32_e32 v60, v62                         // 0000000080F8: 7E78B33E
	v_permlane16_swap_b32_e32 v61, v63                         // 0000000080FC: 7E7AB33F
	v_mfma_f32_16x16x16_f16 v[208:211], v[96:97], v[124:125], v[208:211]// 000000008100: D3CD00D0 0742F960
	v_mul_f32_e32 v68, v44, v68                                // 000000008108: 0A88892C
	v_mul_f32_e32 v69, v45, v69                                // 00000000810C: 0A8A8B2D
	v_mul_f32_e32 v70, v46, v70                                // 000000008110: 0A8C8D2E
	v_mfma_f32_16x16x16_f16 v[212:215], v[98:99], v[124:125], v[212:215]// 000000008114: D3CD00D4 0752F962
	ds_read_b64_tr_b16 a[20:21], v19 offset:61440              // 00000000811C: DBC6F000 14000013
	ds_read_b64_tr_b16 a[22:23], v19 offset:61696              // 000000008124: DBC6F100 16000013
	ds_read_b64_tr_b16 a[24:25], v20                           // 00000000812C: DBC60000 18000014
	v_mfma_f32_16x16x16_f16 v[216:219], v[100:101], v[124:125], v[216:219]// 000000008134: D3CD00D8 0762F964
	v_mul_f32_e32 v71, v47, v71                                // 00000000813C: 0A8E8F2F
	v_cvt_pk_f16_f32 v64, v68, v69                             // 000000008140: D2670040 00028B44
	v_cvt_pk_f16_f32 v65, v70, v71                             // 000000008148: D2670041 00028F46
	v_mfma_f32_16x16x16_f16 v[220:223], v[102:103], v[124:125], v[220:223]// 000000008150: D3CD00DC 0772F966
	ds_read_b32 v126, v16 offset:38400                         // 000000008158: D86C9600 7E000010
	ds_read_b64_tr_b16 a[26:27], v20 offset:256                // 000000008160: DBC60100 1A000014
	ds_read_b64_tr_b16 a[28:29], v20 offset:12288              // 000000008168: DBC63000 1C000014
	s_waitcnt lgkmcnt(8)                                       // 000000008170: BF8CC87F
	v_mfma_f32_32x32x16_f16 a[112:127], v[224:227], v[60:63], a[112:127]// 000000008174: D3D58070 05C279E0
	v_mul_f32_e32 v104, s48, v104                              // 00000000817C: 0AD0D030
	buffer_atomic_add_f32 v114, v9, s[32:35], 0 offen offset:64// 000000008180: E1341040 80087209
	v_mfma_f32_32x32x16_f16 a[128:143], v[228:231], v[60:63], a[128:143]// 000000008188: D3D58080 060279E4
	ds_read_b64_tr_b16 a[30:31], v20 offset:12544              // 000000008190: DBC63100 1E000014
	ds_write_b64 v15, v[64:65] offset:35328                    // 000000008198: D89A8A00 0000400F
	ds_read_b64_tr_b16 a[32:33], v20 offset:24576              // 0000000081A0: DBC66000 20000014
	ds_read_b64_tr_b16 a[34:35], v20 offset:24832              // 0000000081A8: DBC66100 22000014
	v_mfma_f32_32x32x16_f16 a[144:159], v[232:235], v[60:63], a[144:159]// 0000000081B0: D3D58090 064279E8
	.long 0x7fc0b3e2                                           // 0000000081B8: 7FC0B3E2
	.long 0x7fc2b3e3                                           // 0000000081BC: 7FC2B3E3
	buffer_atomic_add_f32 v115, v10, s[32:35], 0 offen offset:64// 0000000081C0: E1341040 8008730A
	v_mfma_f32_32x32x16_f16 a[160:175], v[236:239], v[60:63], a[160:175]// 0000000081C8: D3D580A0 068279EC
	ds_read_b64_tr_b16 a[36:37], v20 offset:36864              // 0000000081D0: DBC69000 24000014
	ds_read_b64_tr_b16 a[38:39], v20 offset:37120              // 0000000081D8: DBC69100 26000014
	ds_read_b64_tr_b16 a[40:41], v20 offset:49152              // 0000000081E0: DBC6C000 28000014
	ds_read_b64_tr_b16 a[42:43], v20 offset:49408              // 0000000081E8: DBC6C100 2A000014
	ds_read_b64_tr_b16 a[44:45], v20 offset:61440              // 0000000081F0: DBC6F000 2C000014
	ds_read_b64_tr_b16 a[46:47], v20 offset:61696              // 0000000081F8: DBC6F100 2E000014
	s_waitcnt lgkmcnt(8)                                       // 000000008200: BF8CC87F
	s_barrier                                                  // 000000008204: BF8A0000
	v_mfma_f32_32x32x16_f16 a[176:191], v[240:243], v[60:63], a[176:191]// 000000008208: D3D580B0 06C279F0
	.long 0x7fc8b3e6                                           // 000000008210: 7FC8B3E6
	.long 0x7fcab3e7                                           // 000000008214: 7FCAB3E7
	v_mov_b32_dpp v107, v104 quad_perm:[3,3,3,3] row_mask:0xf bank_mask:0xf// 000000008218: 7ED602FA FF00FF68
	v_mov_b32_dpp v106, v104 quad_perm:[2,2,2,2] row_mask:0xf bank_mask:0xf// 000000008220: 7ED402FA FF00AA68
	buffer_atomic_add_f32 v116, v7, s[32:35], 0 offen offset:128// 000000008228: E1341080 80087407
	v_mfma_f32_32x32x16_f16 a[192:207], v[244:247], v[60:63], a[192:207]// 000000008230: D3D580C0 070279F4
	ds_read_b64_tr_b16 v[36:37], v14 offset:30720              // 000000008238: D9C67800 2400000E
	ds_read_b64_tr_b16 v[38:39], v14 offset:30752              // 000000008240: D9C67820 2600000E
	ds_read_b64_tr_b16 v[40:41], v14 offset:31872              // 000000008248: D9C67C80 2800000E
	ds_read_b64_tr_b16 v[42:43], v14 offset:31904              // 000000008250: D9C67CA0 2A00000E
	ds_read_b64_tr_b16 v[44:45], v14 offset:33024              // 000000008258: D9C68100 2C00000E
	ds_read_b64_tr_b16 v[46:47], v14 offset:33056              // 000000008260: D9C68120 2E00000E
	v_mfma_f32_16x16x16_f16 a[208:211], v[224:225], v[64:65], a[208:211]// 000000008268: D3CD80D0 074281E0
	.long 0x7fd0b3ea                                           // 000000008270: 7FD0B3EA
	.long 0x7fd2b3eb                                           // 000000008274: 7FD2B3EB
	v_mfma_f32_16x16x16_f16 a[212:215], v[226:227], v[64:65], a[212:215]// 000000008278: D3CD80D4 075281E2
	ds_read_b64_tr_b16 v[48:49], v14 offset:34176              // 000000008280: D9C68580 3000000E
	ds_read_b64_tr_b16 v[50:51], v14 offset:34208              // 000000008288: D9C685A0 3200000E
	ds_read_b64_tr_b16 v[52:53], v14 offset:35328              // 000000008290: D9C68A00 3400000E
	v_mfma_f32_16x16x16_f16 a[216:219], v[228:229], v[64:65], a[216:219]// 000000008298: D3CD80D8 076281E4
	v_permlane16_swap_b32_e32 v236, v238                       // 0000000082A0: 7FD8B3EE
	v_permlane16_swap_b32_e32 v237, v239                       // 0000000082A4: 7FDAB3EF
	buffer_atomic_add_f32 v117, v8, s[32:35], 0 offen offset:128// 0000000082A8: E1341080 80087508
	v_mfma_f32_16x16x16_f16 a[220:223], v[230:231], v[64:65], a[220:223]// 0000000082B0: D3CD80DC 077281E6
	ds_read_b64_tr_b16 v[54:55], v14 offset:35360              // 0000000082B8: D9C68A20 3600000E
	ds_read_b64_tr_b16 v[56:57], v14 offset:36480              // 0000000082C0: D9C68E80 3800000E
	ds_read_b64_tr_b16 v[58:59], v14 offset:36512              // 0000000082C8: D9C68EA0 3A00000E
	v_mfma_f32_16x16x16_f16 a[224:227], v[232:233], v[64:65], a[224:227]// 0000000082D0: D3CD80E0 078281E8
	v_permlane16_swap_b32_e32 v240, v242                       // 0000000082D8: 7FE0B3F2
	v_permlane16_swap_b32_e32 v241, v243                       // 0000000082DC: 7FE2B3F3
	v_mfma_f32_16x16x16_f16 a[228:231], v[234:235], v[64:65], a[228:231]// 0000000082E0: D3CD80E4 079281EA
	ds_read_b64_tr_b16 a[48:49], v21                           // 0000000082E8: DBC60000 30000015
	ds_read_b64_tr_b16 a[50:51], v21 offset:256                // 0000000082F0: DBC60100 32000015
	ds_read_b64_tr_b16 a[52:53], v21 offset:12288              // 0000000082F8: DBC63000 34000015
	v_mfma_f32_16x16x16_f16 a[232:235], v[236:237], v[64:65], a[232:235]// 000000008300: D3CD80E8 07A281EC
	v_permlane16_swap_b32_e32 v244, v246                       // 000000008308: 7FE8B3F6
	v_permlane16_swap_b32_e32 v245, v247                       // 00000000830C: 7FEAB3F7
	v_mfma_f32_16x16x16_f16 a[236:239], v[238:239], v[64:65], a[236:239]// 000000008310: D3CD80EC 07B281EE
	ds_read_b64_tr_b16 a[54:55], v21 offset:12544              // 000000008318: DBC63100 36000015
	ds_read_b64_tr_b16 a[56:57], v21 offset:24576              // 000000008320: DBC66000 38000015
	ds_read_b64_tr_b16 a[58:59], v21 offset:24832              // 000000008328: DBC66100 3A000015
	v_mfma_f32_16x16x16_f16 a[240:243], v[240:241], v[64:65], a[240:243]// 000000008330: D3CD80F0 07C281F0
	v_mov_b32_dpp v105, v104 quad_perm:[1,1,1,1] row_mask:0xf bank_mask:0xf// 000000008338: 7ED202FA FF005568
	buffer_atomic_add_f32 v118, v9, s[32:35], 0 offen offset:128// 000000008340: E1341080 80087609
	v_mfma_f32_16x16x16_f16 a[244:247], v[242:243], v[64:65], a[244:247]// 000000008348: D3CD80F4 07D281F2
	ds_read_b64_tr_b16 a[60:61], v21 offset:36864              // 000000008350: DBC69000 3C000015
	ds_read_b64_tr_b16 a[62:63], v21 offset:37120              // 000000008358: DBC69100 3E000015
	ds_read_b64_tr_b16 v[248:249], v21 offset:49152            // 000000008360: D9C6C000 F8000015
	v_mfma_f32_16x16x16_f16 a[248:251], v[244:245], v[64:65], a[248:251]// 000000008368: D3CD80F8 07E281F4
	v_mov_b32_dpp v104, v104 quad_perm:[0,0,0,0] row_mask:0xf bank_mask:0xf// 000000008370: 7ED002FA FF000068
	buffer_atomic_add_f32 v119, v10, s[32:35], 0 offen offset:128// 000000008378: E1341080 8008770A
	v_mfma_f32_16x16x16_f16 a[252:255], v[246:247], v[64:65], a[252:255]// 000000008380: D3CD80FC 07F281F6
	ds_read_b64_tr_b16 v[250:251], v21 offset:49408            // 000000008388: D9C6C100 FA000015
	ds_read_b64_tr_b16 v[252:253], v21 offset:61440            // 000000008390: D9C6F000 FC000015
	ds_read_b64_tr_b16 v[254:255], v21 offset:61696            // 000000008398: D9C6F100 FE000015
	s_waitcnt vmcnt(12) lgkmcnt(6)                             // 0000000083A0: BF8C067C
	s_barrier                                                  // 0000000083A4: BF8A0000
	v_mfma_f32_16x16x32_f16 v[108:111], v[36:39], a[0:3], 0    // 0000000083A8: D3D4006C 12020124
	s_mov_b32 m0, s81                                          // 0000000083B0: BEFC0051
	buffer_load_dwordx4 v1, s[8:11], 0 idxen lds               // 0000000083B4: E05D2000 80020001
	v_mfma_f32_16x16x32_f16 v[108:111], v[40:43], a[4:7], v[108:111]// 0000000083BC: D3D4006C 15B20928
	ds_read_b128 v[224:227], v12 offset:6144                   // 0000000083C4: D9FE1800 E000000C
	ds_read_b128 v[228:231], v12 offset:7168                   // 0000000083CC: D9FE1C00 E400000C
	v_mfma_f32_16x16x32_f16 v[108:111], v[44:47], a[8:11], v[108:111]// 0000000083D4: D3D4006C 15B2112C
	s_mov_b32 m0, s82                                          // 0000000083DC: BEFC0052
	buffer_load_dword v2, s[8:11], 0 idxen lds                 // 0000000083E0: E0512000 80020002
	v_mfma_f32_16x16x32_f16 v[108:111], v[48:51], a[12:15], v[108:111]// 0000000083E8: D3D4006C 15B21930
	ds_read_b128 v[232:235], v12 offset:8192                   // 0000000083F0: D9FE2000 E800000C
	ds_read_b128 v[236:239], v12 offset:9216                   // 0000000083F8: D9FE2400 EC00000C
	v_mfma_f32_16x16x32_f16 v[108:111], v[52:55], a[16:19], v[108:111]// 000000008400: D3D4006C 15B22134
	s_mov_b32 m0, s83                                          // 000000008408: BEFC0053
	buffer_load_dword v3, s[8:11], 0 idxen lds                 // 00000000840C: E0512000 80020003
	v_mfma_f32_16x16x32_f16 v[108:111], v[56:59], a[20:23], v[108:111]// 000000008414: D3D4006C 15B22938
	ds_read_b128 v[240:243], v12 offset:10240                  // 00000000841C: D9FE2800 F000000C
	ds_read_b128 v[244:247], v12 offset:11264                  // 000000008424: D9FE2C00 F400000C
	v_mfma_f32_16x16x32_f16 v[112:115], v[36:39], a[24:27], 0  // 00000000842C: D3D40070 12023124
	s_mov_b32 m0, s99                                          // 000000008434: BEFC0063
	buffer_load_dwordx4 v4, s[20:23], 0 idxen lds              // 000000008438: E05D2000 80050004
	v_mfma_f32_16x16x32_f16 v[112:115], v[40:43], a[28:31], v[112:115]// 000000008440: D3D40070 15C23928
	ds_read_b128 a[0:3], v17                                   // 000000008448: DBFE0000 00000011
	ds_read_b128 a[4:7], v17 offset:1024                       // 000000008450: DBFE0400 04000011
	v_mfma_f32_16x16x32_f16 v[112:115], v[44:47], a[32:35], v[112:115]// 000000008458: D3D40070 15C2412C
	v_mul_f32_e32 v108, s47, v108                              // 000000008460: 0AD8D82F
	v_mul_f32_e32 v109, s47, v109                              // 000000008464: 0ADADA2F
	s_mov_b32 m0, s78                                          // 000000008468: BEFC004E
	buffer_load_dword v11, s[24:27], 0 idxen lds               // 00000000846C: E0512000 8006000B
	v_mfma_f32_16x16x32_f16 v[112:115], v[48:51], a[36:39], v[112:115]// 000000008474: D3D40070 15C24930
	ds_read_b128 a[8:11], v17 offset:2048                      // 00000000847C: DBFE0800 08000011
	ds_read_b128 a[12:15], v17 offset:3072                     // 000000008484: DBFE0C00 0C000011
	v_mfma_f32_16x16x32_f16 v[112:115], v[52:55], a[40:43], v[112:115]// 00000000848C: D3D40070 15C25134
	s_add_u32 s60, 64, s59                                     // 000000008494: 803C3BC0
	s_cmp_lt_u32 s60, s58                                      // 000000008498: BF0A3A3C
	s_cselect_b32 s68, s68, 0                                  // 00000000849C: 85448044
	s_cselect_b32 s98, s98, 0                                  // 0000000084A0: 85628062
	s_cselect_b32 s69, s69, 0                                  // 0000000084A4: 85458045
	v_mfma_f32_16x16x32_f16 v[112:115], v[56:59], a[44:47], v[112:115]// 0000000084A8: D3D40070 15C25938
	ds_read_b128 a[16:19], v17 offset:4096                     // 0000000084B0: DBFE1000 10000011
	ds_read_b128 a[20:23], v17 offset:5120                     // 0000000084B8: DBFE1400 14000011
	v_mfma_f32_16x16x32_f16 v[116:119], v[36:39], a[48:51], 0  // 0000000084C0: D3D40074 12026124
	v_add_u32_e32 v1, s68, v1                                  // 0000000084C8: 68020244
	v_add_u32_e32 v2, s68, v2                                  // 0000000084CC: 68040444
	v_add_u32_e32 v3, s68, v3                                  // 0000000084D0: 68060644
	v_add_u32_e32 v4, s98, v4                                  // 0000000084D4: 68080862
	v_add_u32_e32 v11, s69, v11                                // 0000000084D8: 68161645
	v_mfma_f32_16x16x32_f16 v[116:119], v[40:43], a[52:55], v[116:119]// 0000000084DC: D3D40074 15D26928
	ds_read_b128 a[24:27], v17 offset:24576                    // 0000000084E4: DBFE6000 18000011
	ds_read_b128 a[28:31], v17 offset:25600                    // 0000000084EC: DBFE6400 1C000011
	s_waitcnt lgkmcnt(14)                                      // 0000000084F4: BF8CCE7F
	v_mfma_f32_16x16x32_f16 v[116:119], v[44:47], a[56:59], v[116:119]// 0000000084F8: D3D40074 15D2712C
	v_mul_f32_e32 v110, s47, v110                              // 000000008500: 0ADCDC2F
	v_mul_f32_e32 v111, s47, v111                              // 000000008504: 0ADEDE2F
	s_cmp_ge_u32 s59, s73                                      // 000000008508: BF09493B
	s_cselect_b32 s66, s67, s66                                // 00000000850C: 85424243
	v_mfma_f32_16x16x32_f16 v[116:119], v[48:51], a[60:63], v[116:119]// 000000008510: D3D40074 15D27930
	ds_read_b128 a[32:35], v17 offset:26624                    // 000000008518: DBFE6800 20000011
	ds_read_b128 a[36:39], v17 offset:27648                    // 000000008520: DBFE6C00 24000011
	v_mfma_f32_16x16x32_f16 v[116:119], v[52:55], v[248:251], v[116:119]// 000000008528: D3D40074 05D3F134
	s_addk_i32 s59, 0x10                                       // 000000008530: B73B0010
	v_mul_f32_e32 v112, s47, v112                              // 000000008534: 0AE0E02F
	v_mul_f32_e32 v113, s47, v113                              // 000000008538: 0AE2E22F
	s_cmp_lt_i32 s59, s58                                      // 00000000853C: BF043A3B
	v_mfma_f32_16x16x32_f16 v[116:119], v[56:59], v[252:255], v[116:119]// 000000008540: D3D40074 05D3F938
	ds_read_b128 a[40:43], v17 offset:28672                    // 000000008548: DBFE7000 28000011
	ds_read_b128 a[44:47], v17 offset:29696                    // 000000008550: DBFE7400 2C000011
	s_cbranch_scc0 label_0E97                                  // 000000008558: BF84FD31
	s_waitcnt lgkmcnt(2)                                       // 00000000855C: BF8CC27F
	v_mfma_f32_16x16x32_f16 v[36:39], v[224:227], a[0:3], 0    // 000000008560: D3D40024 120201E0
	v_add_u32_e32 v7, s66, v7                                  // 000000008568: 680E0E42
	v_add_u32_e32 v8, s66, v8                                  // 00000000856C: 68101042
	v_mfma_f32_16x16x32_f16 v[36:39], v[228:231], a[4:7], v[36:39]// 000000008570: D3D40024 149209E4
	ds_read_b128 a[48:51], v17 offset:49152                    // 000000008578: DBFEC000 30000011
	ds_read_b128 a[52:55], v17 offset:50176                    // 000000008580: DBFEC400 34000011
	v_mfma_f32_16x16x32_f16 v[36:39], v[232:235], a[8:11], v[36:39]// 000000008588: D3D40024 149211E8
	v_add_u32_e32 v9, s66, v9                                  // 000000008590: 68121242
	v_add_u32_e32 v10, s66, v10                                // 000000008594: 68141442
	v_mfma_f32_16x16x32_f16 v[36:39], v[236:239], a[12:15], v[36:39]// 000000008598: D3D40024 149219EC
	ds_read_b128 a[56:59], v17 offset:51200                    // 0000000085A0: DBFEC800 38000011
	ds_read_b128 a[60:63], v17 offset:52224                    // 0000000085A8: DBFECC00 3C000011
	v_mfma_f32_16x16x32_f16 v[36:39], v[240:243], a[16:19], v[36:39]// 0000000085B0: D3D40024 149221F0
	v_mul_f32_e32 v114, s47, v114                              // 0000000085B8: 0AE4E42F
	v_mul_f32_e32 v115, s47, v115                              // 0000000085BC: 0AE6E62F
	v_mfma_f32_16x16x32_f16 v[36:39], v[244:247], a[20:23], v[36:39]// 0000000085C0: D3D40024 149229F4
	ds_read_b128 v[248:251], v17 offset:53248                  // 0000000085C8: D9FED000 F8000011
	ds_read_b128 v[252:255], v17 offset:54272                  // 0000000085D0: D9FED400 FC000011
	v_mfma_f32_16x16x32_f16 v[40:43], v[224:227], a[24:27], 0  // 0000000085D8: D3D40028 120231E0
	v_mul_f32_e32 v116, s47, v116                              // 0000000085E0: 0AE8E82F
	v_mul_f32_e32 v117, s47, v117                              // 0000000085E4: 0AEAEA2F
	v_mfma_f32_16x16x32_f16 v[40:43], v[228:231], a[28:31], v[40:43]// 0000000085E8: D3D40028 14A239E4
	ds_read_b128 v[72:75], v12 offset:22528                    // 0000000085F0: D9FE5800 4800000C
	ds_read_b128 v[76:79], v12 offset:23552                    // 0000000085F8: D9FE5C00 4C00000C
	v_mfma_f32_16x16x32_f16 v[40:43], v[232:235], a[32:35], v[40:43]// 000000008600: D3D40028 14A241E8
	v_mul_f32_e32 v118, s47, v118                              // 000000008608: 0AECEC2F
	v_mul_f32_e32 v119, s47, v119                              // 00000000860C: 0AEEEE2F
	buffer_atomic_add_f32 v108, v7, s[32:35], 0 offen          // 000000008610: E1341000 80086C07
	v_mfma_f32_16x16x32_f16 v[40:43], v[236:239], a[36:39], v[40:43]// 000000008618: D3D40028 14A249EC
	ds_read_b128 v[80:83], v12 offset:24576                    // 000000008620: D9FE6000 5000000C
	ds_read_b128 v[84:87], v12 offset:25600                    // 000000008628: D9FE6400 5400000C
	s_waitcnt lgkmcnt(10)                                      // 000000008630: BF8CCA7F
	v_mfma_f32_16x16x32_f16 v[40:43], v[240:243], a[40:43], v[40:43]// 000000008634: D3D40028 14A251F0
	v_fma_f32 v36, v36, s57, -v104                             // 00000000863C: D1CB0024 85A07324
	v_fma_f32 v37, v37, s57, -v105                             // 000000008644: D1CB0025 85A47325
	v_mfma_f32_16x16x32_f16 v[40:43], v[244:247], a[44:47], v[40:43]// 00000000864C: D3D40028 14A259F4
	ds_read_b64_tr_b16 v[88:89], v13 offset:22528              // 000000008654: D9C65800 5800000D
	ds_read_b64_tr_b16 v[90:91], v13 offset:22784              // 00000000865C: D9C65900 5A00000D
	s_waitcnt lgkmcnt(10)                                      // 000000008664: BF8CCA7F
	v_mfma_f32_16x16x32_f16 v[44:47], v[224:227], a[48:51], 0  // 000000008668: D3D4002C 120261E0
	v_fma_f32 v38, v38, s57, -v106                             // 000000008670: D1CB0026 85A87326
	v_fma_f32 v39, v39, s57, -v107                             // 000000008678: D1CB0027 85AC7327
	v_mfma_f32_16x16x32_f16 v[44:47], v[228:231], a[52:55], v[44:47]// 000000008680: D3D4002C 14B269E4
	ds_read_b64_tr_b16 v[92:93], v13 offset:23552              // 000000008688: D9C65C00 5C00000D
	ds_read_b64_tr_b16 v[94:95], v13 offset:23808              // 000000008690: D9C65D00 5E00000D
	s_waitcnt lgkmcnt(10)                                      // 000000008698: BF8CCA7F
	v_mfma_f32_16x16x32_f16 v[44:47], v[232:235], a[56:59], v[44:47]// 00000000869C: D3D4002C 14B271E8
	v_fma_f32 v40, v40, s57, -v104                             // 0000000086A4: D1CB0028 85A07328
	v_fma_f32 v41, v41, s57, -v105                             // 0000000086AC: D1CB0029 85A47329
	buffer_atomic_add_f32 v109, v8, s[32:35], 0 offen          // 0000000086B4: E1341000 80086D08
	v_mfma_f32_16x16x32_f16 v[44:47], v[236:239], a[60:63], v[44:47]// 0000000086BC: D3D4002C 14B279EC
	ds_read_b64_tr_b16 v[96:97], v13 offset:24576              // 0000000086C4: D9C66000 6000000D
	ds_read_b64_tr_b16 v[98:99], v13 offset:24832              // 0000000086CC: D9C66100 6200000D
	s_waitcnt lgkmcnt(10)                                      // 0000000086D4: BF8CCA7F
	v_mfma_f32_16x16x32_f16 v[44:47], v[240:243], v[248:251], v[44:47]// 0000000086D8: D3D4002C 04B3F1F0
	v_fma_f32 v42, v42, s57, -v106                             // 0000000086E0: D1CB002A 85A8732A
	v_fma_f32 v43, v43, s57, -v107                             // 0000000086E8: D1CB002B 85AC732B
	v_mfma_f32_16x16x32_f16 v[44:47], v[244:247], v[252:255], v[44:47]// 0000000086F0: D3D4002C 04B3F9F4
	ds_read_b64_tr_b16 v[100:101], v13 offset:25600            // 0000000086F8: D9C66400 6400000D
	ds_read_b64_tr_b16 v[102:103], v13 offset:25856            // 000000008700: D9C66500 6600000D
	s_cmp_eq_i32 s90, 0                                        // 000000008708: BF00805A
	s_cbranch_scc1 label_126C                                  // 00000000870C: BF85008F
	s_cmp_lt_i32 s74, 12                                       // 000000008710: BF048C4A
	s_cbranch_scc0 label_1217                                  // 000000008714: BF84003D
	s_lshl_b32 s60, s74, 4                                     // 000000008718: 8E3C844A
	v_sub_i32 v32, v24, s60                                    // 00000000871C: D29D0020 00007918
	s_mov_b32 s61, 0                                           // 000000008724: BEBD0080
	v_add_i32 v33, v32, s61                                    // 000000008728: D29C0021 00007B20
	v_cmp_gt_i32_e64 s[60:61], v33, 0                          // 000000008730: D0C4003C 00010121
	v_cmp_gt_i32_e64 s[92:93], v33, 1                          // 000000008738: D0C4005C 00010321
	v_cndmask_b32_e64 v36, v36, v127, s[60:61]                 // 000000008740: D1000024 00F2FF24
	v_cndmask_b32_e64 v37, v37, v127, s[92:93]                 // 000000008748: D1000025 0172FF25
	v_cmp_gt_i32_e64 s[60:61], v33, 2                          // 000000008750: D0C4003C 00010521
	v_cmp_gt_i32_e64 s[92:93], v33, 3                          // 000000008758: D0C4005C 00010721
	v_cndmask_b32_e64 v38, v38, v127, s[60:61]                 // 000000008760: D1000026 00F2FF26
	v_cndmask_b32_e64 v39, v39, v127, s[92:93]                 // 000000008768: D1000027 0172FF27
	s_mov_b32 s61, 64                                          // 000000008770: BEBD00C0
	v_add_i32 v33, v32, s61                                    // 000000008774: D29C0021 00007B20
	v_cmp_gt_i32_e64 s[60:61], v33, 0                          // 00000000877C: D0C4003C 00010121
	v_cmp_gt_i32_e64 s[92:93], v33, 1                          // 000000008784: D0C4005C 00010321
	v_cndmask_b32_e64 v40, v40, v127, s[60:61]                 // 00000000878C: D1000028 00F2FF28
	v_cndmask_b32_e64 v41, v41, v127, s[92:93]                 // 000000008794: D1000029 0172FF29
	v_cmp_gt_i32_e64 s[60:61], v33, 2                          // 00000000879C: D0C4003C 00010521
	v_cmp_gt_i32_e64 s[92:93], v33, 3                          // 0000000087A4: D0C4005C 00010721
	v_cndmask_b32_e64 v42, v42, v127, s[60:61]                 // 0000000087AC: D100002A 00F2FF2A
	v_cndmask_b32_e64 v43, v43, v127, s[92:93]                 // 0000000087B4: D100002B 0172FF2B
	s_mov_b32 s61, 0x80                                        // 0000000087BC: BEBD00FF 00000080
	v_add_i32 v33, v32, s61                                    // 0000000087C4: D29C0021 00007B20
	v_cmp_gt_i32_e64 s[60:61], v33, 0                          // 0000000087CC: D0C4003C 00010121
	v_cmp_gt_i32_e64 s[92:93], v33, 1                          // 0000000087D4: D0C4005C 00010321
	v_cndmask_b32_e64 v44, v44, v127, s[60:61]                 // 0000000087DC: D100002C 00F2FF2C
	v_cndmask_b32_e64 v45, v45, v127, s[92:93]                 // 0000000087E4: D100002D 0172FF2D
	v_cmp_gt_i32_e64 s[60:61], v33, 2                          // 0000000087EC: D0C4003C 00010521
	v_cmp_gt_i32_e64 s[92:93], v33, 3                          // 0000000087F4: D0C4005C 00010721
	v_cndmask_b32_e64 v46, v46, v127, s[60:61]                 // 0000000087FC: D100002E 00F2FF2E
	v_cndmask_b32_e64 v47, v47, v127, s[92:93]                 // 000000008804: D100002F 0172FF2F

000000000000880c <label_1217>:
	s_cmp_lt_i32 s64, 0xc0                                     // 00000000880C: BF04FF40 000000C0
	s_cbranch_scc0 label_126C                                  // 000000008814: BF84004D
	s_cmp_le_i32 s64, 64                                       // 000000008818: BF05C040
	s_cbranch_scc1 label_1223                                  // 00000000881C: BF850007
	s_cmp_le_i32 s64, 0x80                                     // 000000008820: BF05FF40 00000080
	s_cbranch_scc1 label_123B                                  // 000000008828: BF850017
	s_cmp_lt_i32 s64, 0xc0                                     // 00000000882C: BF04FF40 000000C0
	s_cbranch_scc1 label_1253                                  // 000000008834: BF85002C
	s_branch label_126C                                        // 000000008838: BF820044

000000000000883c <label_1223>:
	s_mov_b32 s60, 0                                           // 00000000883C: BEBC0080
	v_and_b32_e32 v32, 15, v0                                  // 000000008840: 2640008F
	v_add_u32_e64 v32, v32, s60                                // 000000008844: D1340020 00007920
	v_mul_i32_i24_e64 v33, s46, 16                             // 00000000884C: D1060021 0001202E
	v_add_u32_e32 v32, v32, v33                                // 000000008854: 68404320
	v_cmp_lt_u32_e64 s[60:61], v32, s64                        // 000000008858: D0C9003C 00008120
	s_nop 1                                                    // 000000008860: BF800001
	v_cndmask_b32_e64 v36, v127, v36, s[60:61]                 // 000000008864: D1000024 00F2497F
	v_cndmask_b32_e64 v37, v127, v37, s[60:61]                 // 00000000886C: D1000025 00F24B7F
	v_cndmask_b32_e64 v38, v127, v38, s[60:61]                 // 000000008874: D1000026 00F24D7F
	v_cndmask_b32_e64 v39, v127, v39, s[60:61]                 // 00000000887C: D1000027 00F24F7F
	s_branch label_124E                                        // 000000008884: BF820013

0000000000008888 <label_123B>:
	s_mov_b32 s60, 64                                          // 000000008888: BEBC00C0
	v_and_b32_e32 v32, 15, v0                                  // 00000000888C: 2640008F
	v_add_u32_e64 v32, v32, s60                                // 000000008890: D1340020 00007920
	v_mul_i32_i24_e64 v33, s46, 16                             // 000000008898: D1060021 0001202E
	v_add_u32_e32 v32, v32, v33                                // 0000000088A0: 68404320
	v_cmp_lt_u32_e64 s[60:61], v32, s64                        // 0000000088A4: D0C9003C 00008120
	s_nop 1                                                    // 0000000088AC: BF800001
	v_cndmask_b32_e64 v40, v127, v40, s[60:61]                 // 0000000088B0: D1000028 00F2517F
	v_cndmask_b32_e64 v41, v127, v41, s[60:61]                 // 0000000088B8: D1000029 00F2537F
	v_cndmask_b32_e64 v42, v127, v42, s[60:61]                 // 0000000088C0: D100002A 00F2557F
	v_cndmask_b32_e64 v43, v127, v43, s[60:61]                 // 0000000088C8: D100002B 00F2577F
	s_branch label_1267                                        // 0000000088D0: BF820019

00000000000088d4 <label_124E>:
	v_mov_b32_e32 v40, v127                                    // 0000000088D4: 7E50037F
	v_mov_b32_e32 v41, v127                                    // 0000000088D8: 7E52037F
	v_mov_b32_e32 v42, v127                                    // 0000000088DC: 7E54037F
	v_mov_b32_e32 v43, v127                                    // 0000000088E0: 7E56037F
	s_branch label_1267                                        // 0000000088E4: BF820014

00000000000088e8 <label_1253>:
	s_mov_b32 s60, 0x80                                        // 0000000088E8: BEBC00FF 00000080
	v_and_b32_e32 v32, 15, v0                                  // 0000000088F0: 2640008F
	v_add_u32_e64 v32, v32, s60                                // 0000000088F4: D1340020 00007920
	v_mul_i32_i24_e64 v33, s46, 16                             // 0000000088FC: D1060021 0001202E
	v_add_u32_e32 v32, v32, v33                                // 000000008904: 68404320
	v_cmp_lt_u32_e64 s[60:61], v32, s64                        // 000000008908: D0C9003C 00008120
	s_nop 1                                                    // 000000008910: BF800001
	v_cndmask_b32_e64 v44, v127, v44, s[60:61]                 // 000000008914: D100002C 00F2597F
	v_cndmask_b32_e64 v45, v127, v45, s[60:61]                 // 00000000891C: D100002D 00F25B7F
	v_cndmask_b32_e64 v46, v127, v46, s[60:61]                 // 000000008924: D100002E 00F25D7F
	v_cndmask_b32_e64 v47, v127, v47, s[60:61]                 // 00000000892C: D100002F 00F25F7F
	s_branch label_126C                                        // 000000008934: BF820005

0000000000008938 <label_1267>:
	v_mov_b32_e32 v44, v127                                    // 000000008938: 7E58037F
	v_mov_b32_e32 v45, v127                                    // 00000000893C: 7E5A037F
	v_mov_b32_e32 v46, v127                                    // 000000008940: 7E5C037F
	v_mov_b32_e32 v47, v127                                    // 000000008944: 7E5E037F
	s_branch label_126C                                        // 000000008948: BF820000

000000000000894c <label_126C>:
	s_addk_i32 s74, 0x1                                        // 00000000894C: B74A0001
	s_waitcnt lgkmcnt(8)                                       // 000000008950: BF8CC87F
	v_mfma_f32_16x16x32_f16 v[60:63], v[72:75], a[64:67], 0    // 000000008954: D3D4003C 12028148
	v_exp_f32_e32 v36, v36                                     // 00000000895C: 7E484124
	v_exp_f32_e32 v37, v37                                     // 000000008960: 7E4A4125
	v_mfma_f32_16x16x32_f16 v[60:63], v[76:79], a[68:71], v[60:63]// 000000008964: D3D4003C 14F2894C
	v_exp_f32_e32 v38, v38                                     // 00000000896C: 7E4C4126
	v_exp_f32_e32 v39, v39                                     // 000000008970: 7E4E4127
	v_mfma_f32_16x16x32_f16 v[60:63], v[80:83], a[72:75], v[60:63]// 000000008974: D3D4003C 14F29150
	v_fma_f32 v44, v44, s57, -v104                             // 00000000897C: D1CB002C 85A0732C
	v_fma_f32 v45, v45, s57, -v105                             // 000000008984: D1CB002D 85A4732D
	v_exp_f32_e32 v40, v40                                     // 00000000898C: 7E504128
	v_exp_f32_e32 v41, v41                                     // 000000008990: 7E524129
	buffer_atomic_add_f32 v110, v9, s[32:35], 0 offen          // 000000008994: E1341000 80086E09
	v_mfma_f32_16x16x32_f16 v[60:63], v[84:87], a[76:79], v[60:63]// 00000000899C: D3D4003C 14F29954
	ds_read_b64_tr_b16 v[224:225], v13 offset:6144             // 0000000089A4: D9C61800 E000000D
	ds_read_b64_tr_b16 v[226:227], v13 offset:6400             // 0000000089AC: D9C61900 E200000D
	ds_read_b64_tr_b16 v[228:229], v13 offset:7168             // 0000000089B4: D9C61C00 E400000D
	ds_read_b64_tr_b16 v[230:231], v13 offset:7424             // 0000000089BC: D9C61D00 E600000D
	v_mfma_f32_16x16x32_f16 v[64:67], v[72:75], a[80:83], 0    // 0000000089C4: D3D40040 1202A148
	v_fma_f32 v46, v46, s57, -v106                             // 0000000089CC: D1CB002E 85A8732E
	v_fma_f32 v47, v47, s57, -v107                             // 0000000089D4: D1CB002F 85AC732F
	v_exp_f32_e32 v42, v42                                     // 0000000089DC: 7E54412A
	v_exp_f32_e32 v43, v43                                     // 0000000089E0: 7E56412B
	v_mfma_f32_16x16x32_f16 v[64:67], v[76:79], a[84:87], v[64:67]// 0000000089E4: D3D40040 1502A94C
	ds_read_b64_tr_b16 v[232:233], v13 offset:8192             // 0000000089EC: D9C62000 E800000D
	ds_read_b64_tr_b16 v[234:235], v13 offset:8448             // 0000000089F4: D9C62100 EA00000D
	ds_read_b64_tr_b16 v[236:237], v13 offset:9216             // 0000000089FC: D9C62400 EC00000D
	ds_read_b64_tr_b16 v[238:239], v13 offset:9472             // 000000008A04: D9C62500 EE00000D
	v_mfma_f32_16x16x32_f16 v[64:67], v[80:83], a[88:91], v[64:67]// 000000008A0C: D3D40040 1502B150
	v_exp_f32_e32 v44, v44                                     // 000000008A14: 7E58412C
	v_exp_f32_e32 v45, v45                                     // 000000008A18: 7E5A412D
	v_mfma_f32_16x16x32_f16 v[64:67], v[84:87], a[92:95], v[64:67]// 000000008A1C: D3D40040 1502B954
	v_cvt_pk_f16_f32 v120, v36, v37                            // 000000008A24: D2670078 00024B24
	v_cvt_pk_f16_f32 v121, v38, v39                            // 000000008A2C: D2670079 00024F26
	v_cvt_pk_f16_f32 v122, v40, v41                            // 000000008A34: D267007A 00025328
	v_cvt_pk_f16_f32 v123, v42, v43                            // 000000008A3C: D267007B 0002572A
	v_mfma_f32_16x16x32_f16 v[68:71], v[72:75], a[96:99], 0    // 000000008A44: D3D40044 1202C148
	v_exp_f32_e32 v46, v46                                     // 000000008A4C: 7E5C412E
	v_exp_f32_e32 v47, v47                                     // 000000008A50: 7E5E412F
	v_mfma_f32_16x16x32_f16 v[68:71], v[76:79], a[100:103], v[68:71]// 000000008A54: D3D40044 1512C94C
	v_permlane16_swap_b32_e32 v120, v122                       // 000000008A5C: 7EF0B37A
	v_permlane16_swap_b32_e32 v121, v123                       // 000000008A60: 7EF2B37B
	v_mfma_f32_16x16x32_f16 v[68:71], v[80:83], a[104:107], v[68:71]// 000000008A64: D3D40044 1512D150
	v_cvt_pk_f16_f32 v124, v44, v45                            // 000000008A6C: D267007C 00025B2C
	v_cvt_pk_f16_f32 v125, v46, v47                            // 000000008A74: D267007D 00025F2E
	buffer_atomic_add_f32 v111, v10, s[32:35], 0 offen         // 000000008A7C: E1341000 80086F0A
	v_mfma_f32_16x16x32_f16 v[68:71], v[84:87], a[108:111], v[68:71]// 000000008A84: D3D40044 1512D954
	ds_read_b64_tr_b16 v[240:241], v13 offset:10240            // 000000008A8C: D9C62800 F000000D
	ds_read_b64_tr_b16 v[242:243], v13 offset:10496            // 000000008A94: D9C62900 F200000D
	ds_read_b64_tr_b16 v[244:245], v13 offset:11264            // 000000008A9C: D9C62C00 F400000D
	ds_read_b64_tr_b16 v[246:247], v13 offset:11520            // 000000008AA4: D9C62D00 F600000D
	s_waitcnt lgkmcnt(12)                                      // 000000008AAC: BF8CCC7F
	v_mfma_f32_32x32x16_f16 v[128:143], v[88:91], v[120:123], v[128:143]// 000000008AB0: D3D50080 0602F158
	v_subrev_f32_dpp v60, v126, v60 quad_perm:[0,0,0,0] row_mask:0xf bank_mask:0xf// 000000008AB8: 067878FA FF00007E
	v_subrev_f32_dpp v61, v126, v61 quad_perm:[1,1,1,1] row_mask:0xf bank_mask:0xf// 000000008AC0: 067A7AFA FF00557E
	v_subrev_f32_dpp v62, v126, v62 quad_perm:[2,2,2,2] row_mask:0xf bank_mask:0xf// 000000008AC8: 067C7CFA FF00AA7E
	v_subrev_f32_dpp v63, v126, v63 quad_perm:[3,3,3,3] row_mask:0xf bank_mask:0xf// 000000008AD0: 067E7EFA FF00FF7E
	v_subrev_f32_dpp v64, v126, v64 quad_perm:[0,0,0,0] row_mask:0xf bank_mask:0xf// 000000008AD8: 068080FA FF00007E
	v_subrev_f32_dpp v65, v126, v65 quad_perm:[1,1,1,1] row_mask:0xf bank_mask:0xf// 000000008AE0: 068282FA FF00557E
	v_subrev_f32_dpp v66, v126, v66 quad_perm:[2,2,2,2] row_mask:0xf bank_mask:0xf// 000000008AE8: 068484FA FF00AA7E
	v_subrev_f32_dpp v67, v126, v67 quad_perm:[3,3,3,3] row_mask:0xf bank_mask:0xf// 000000008AF0: 068686FA FF00FF7E
	v_mul_f32_e32 v60, v36, v60                                // 000000008AF8: 0A787924
	v_mul_f32_e32 v61, v37, v61                                // 000000008AFC: 0A7A7B25
	v_mul_f32_e32 v62, v38, v62                                // 000000008B00: 0A7C7D26
	v_mul_f32_e32 v63, v39, v63                                // 000000008B04: 0A7E7F27
	v_mfma_f32_32x32x16_f16 v[144:159], v[92:95], v[120:123], v[144:159]// 000000008B08: D3D50090 0642F15C
	ds_read_b64_tr_b16 a[0:1], v19                             // 000000008B10: DBC60000 00000013
	ds_read_b64_tr_b16 a[2:3], v19 offset:256                  // 000000008B18: DBC60100 02000013
	ds_read_b64_tr_b16 a[4:5], v19 offset:12288                // 000000008B20: DBC63000 04000013
	ds_read_b64_tr_b16 a[6:7], v19 offset:12544                // 000000008B28: DBC63100 06000013
	ds_read_b64_tr_b16 a[8:9], v19 offset:24576                // 000000008B30: DBC66000 08000013
	buffer_atomic_add_f32 v112, v7, s[32:35], 0 offen offset:64// 000000008B38: E1341040 80087007
	v_mfma_f32_32x32x16_f16 v[160:175], v[96:99], v[120:123], v[160:175]// 000000008B40: D3D500A0 0682F160
	v_mul_f32_e32 v64, v40, v64                                // 000000008B48: 0A808128
	v_mul_f32_e32 v65, v41, v65                                // 000000008B4C: 0A828329
	v_mul_f32_e32 v66, v42, v66                                // 000000008B50: 0A84852A
	v_mul_f32_e32 v67, v43, v67                                // 000000008B54: 0A86872B
	v_permlane16_swap_b32_e32 v88, v90                         // 000000008B58: 7EB0B35A
	v_permlane16_swap_b32_e32 v89, v91                         // 000000008B5C: 7EB2B35B
	v_cvt_pk_f16_f32 v60, v60, v61                             // 000000008B60: D267003C 00027B3C
	v_cvt_pk_f16_f32 v61, v62, v63                             // 000000008B68: D267003D 00027F3E
	v_cvt_pk_f16_f32 v62, v64, v65                             // 000000008B70: D267003E 00028340
	v_cvt_pk_f16_f32 v63, v66, v67                             // 000000008B78: D267003F 00028742
	v_permlane16_swap_b32_e32 v92, v94                         // 000000008B80: 7EB8B35E
	v_permlane16_swap_b32_e32 v93, v95                         // 000000008B84: 7EBAB35F
	v_mfma_f32_32x32x16_f16 v[176:191], v[100:103], v[120:123], v[176:191]// 000000008B88: D3D500B0 06C2F164
	ds_read_b64_tr_b16 a[10:11], v19 offset:24832              // 000000008B90: DBC66100 0A000013
	ds_read_b64_tr_b16 a[12:13], v19 offset:36864              // 000000008B98: DBC69000 0C000013
	ds_read_b64_tr_b16 a[14:15], v19 offset:37120              // 000000008BA0: DBC69100 0E000013
	ds_read_b64_tr_b16 a[16:17], v19 offset:49152              // 000000008BA8: DBC6C000 10000013
	ds_read_b64_tr_b16 a[18:19], v19 offset:49408              // 000000008BB0: DBC6C100 12000013
	ds_read_b32 v104, v16 offset:38656                         // 000000008BB8: D86C9700 68000010
	v_mfma_f32_16x16x16_f16 v[192:195], v[88:89], v[124:125], v[192:195]// 000000008BC0: D3CD00C0 0702F958
	v_permlane16_swap_b32_e32 v96, v98                         // 000000008BC8: 7EC0B362
	v_permlane16_swap_b32_e32 v97, v99                         // 000000008BCC: 7EC2B363
	v_subrev_f32_dpp v68, v126, v68 quad_perm:[0,0,0,0] row_mask:0xf bank_mask:0xf// 000000008BD0: 068888FA FF00007E
	v_subrev_f32_dpp v69, v126, v69 quad_perm:[1,1,1,1] row_mask:0xf bank_mask:0xf// 000000008BD8: 068A8AFA FF00557E
	v_mfma_f32_16x16x16_f16 v[196:199], v[90:91], v[124:125], v[196:199]// 000000008BE0: D3CD00C4 0712F95A
	buffer_atomic_add_f32 v113, v8, s[32:35], 0 offen offset:64// 000000008BE8: E1341040 80087108
	ds_write_b64 v15, v[60:61] offset:30720                    // 000000008BF0: D89A7800 00003C0F
	ds_write_b64 v15, v[62:63] offset:33024                    // 000000008BF8: D89A8100 00003E0F
	v_mfma_f32_16x16x16_f16 v[200:203], v[92:93], v[124:125], v[200:203]// 000000008C00: D3CD00C8 0722F95C
	v_permlane16_swap_b32_e32 v100, v102                       // 000000008C08: 7EC8B366
	v_permlane16_swap_b32_e32 v101, v103                       // 000000008C0C: 7ECAB367
	v_subrev_f32_dpp v70, v126, v70 quad_perm:[2,2,2,2] row_mask:0xf bank_mask:0xf// 000000008C10: 068C8CFA FF00AA7E
	v_subrev_f32_dpp v71, v126, v71 quad_perm:[3,3,3,3] row_mask:0xf bank_mask:0xf// 000000008C18: 068E8EFA FF00FF7E
	v_mfma_f32_16x16x16_f16 v[204:207], v[94:95], v[124:125], v[204:207]// 000000008C20: D3CD00CC 0732F95E
	v_permlane16_swap_b32_e32 v60, v62                         // 000000008C28: 7E78B33E
	v_permlane16_swap_b32_e32 v61, v63                         // 000000008C2C: 7E7AB33F
	v_mfma_f32_16x16x16_f16 v[208:211], v[96:97], v[124:125], v[208:211]// 000000008C30: D3CD00D0 0742F960
	v_mul_f32_e32 v68, v44, v68                                // 000000008C38: 0A88892C
	v_mul_f32_e32 v69, v45, v69                                // 000000008C3C: 0A8A8B2D
	v_mul_f32_e32 v70, v46, v70                                // 000000008C40: 0A8C8D2E
	v_mfma_f32_16x16x16_f16 v[212:215], v[98:99], v[124:125], v[212:215]// 000000008C44: D3CD00D4 0752F962
	ds_read_b64_tr_b16 a[20:21], v19 offset:61440              // 000000008C4C: DBC6F000 14000013
	ds_read_b64_tr_b16 a[22:23], v19 offset:61696              // 000000008C54: DBC6F100 16000013
	ds_read_b64_tr_b16 a[24:25], v20                           // 000000008C5C: DBC60000 18000014
	v_mfma_f32_16x16x16_f16 v[216:219], v[100:101], v[124:125], v[216:219]// 000000008C64: D3CD00D8 0762F964
	v_mul_f32_e32 v71, v47, v71                                // 000000008C6C: 0A8E8F2F
	v_cvt_pk_f16_f32 v64, v68, v69                             // 000000008C70: D2670040 00028B44
	v_cvt_pk_f16_f32 v65, v70, v71                             // 000000008C78: D2670041 00028F46
	v_mfma_f32_16x16x16_f16 v[220:223], v[102:103], v[124:125], v[220:223]// 000000008C80: D3CD00DC 0772F966
	ds_read_b32 v126, v16 offset:38912                         // 000000008C88: D86C9800 7E000010
	ds_read_b64_tr_b16 a[26:27], v20 offset:256                // 000000008C90: DBC60100 1A000014
	ds_read_b64_tr_b16 a[28:29], v20 offset:12288              // 000000008C98: DBC63000 1C000014
	s_waitcnt lgkmcnt(8)                                       // 000000008CA0: BF8CC87F
	v_mfma_f32_32x32x16_f16 a[112:127], v[224:227], v[60:63], a[112:127]// 000000008CA4: D3D58070 05C279E0
	v_mul_f32_e32 v104, s48, v104                              // 000000008CAC: 0AD0D030
	buffer_atomic_add_f32 v114, v9, s[32:35], 0 offen offset:64// 000000008CB0: E1341040 80087209
	v_mfma_f32_32x32x16_f16 a[128:143], v[228:231], v[60:63], a[128:143]// 000000008CB8: D3D58080 060279E4
	ds_read_b64_tr_b16 a[30:31], v20 offset:12544              // 000000008CC0: DBC63100 1E000014
	ds_write_b64 v15, v[64:65] offset:35328                    // 000000008CC8: D89A8A00 0000400F
	ds_read_b64_tr_b16 a[32:33], v20 offset:24576              // 000000008CD0: DBC66000 20000014
	ds_read_b64_tr_b16 a[34:35], v20 offset:24832              // 000000008CD8: DBC66100 22000014
	v_mfma_f32_32x32x16_f16 a[144:159], v[232:235], v[60:63], a[144:159]// 000000008CE0: D3D58090 064279E8
	.long 0x7fc0b3e2                                           // 000000008CE8: 7FC0B3E2
	.long 0x7fc2b3e3                                           // 000000008CEC: 7FC2B3E3
	buffer_atomic_add_f32 v115, v10, s[32:35], 0 offen offset:64// 000000008CF0: E1341040 8008730A
	v_mfma_f32_32x32x16_f16 a[160:175], v[236:239], v[60:63], a[160:175]// 000000008CF8: D3D580A0 068279EC
	ds_read_b64_tr_b16 a[36:37], v20 offset:36864              // 000000008D00: DBC69000 24000014
	ds_read_b64_tr_b16 a[38:39], v20 offset:37120              // 000000008D08: DBC69100 26000014
	ds_read_b64_tr_b16 a[40:41], v20 offset:49152              // 000000008D10: DBC6C000 28000014
	ds_read_b64_tr_b16 a[42:43], v20 offset:49408              // 000000008D18: DBC6C100 2A000014
	ds_read_b64_tr_b16 a[44:45], v20 offset:61440              // 000000008D20: DBC6F000 2C000014
	ds_read_b64_tr_b16 a[46:47], v20 offset:61696              // 000000008D28: DBC6F100 2E000014
	s_waitcnt lgkmcnt(8)                                       // 000000008D30: BF8CC87F
	s_barrier                                                  // 000000008D34: BF8A0000
	v_mfma_f32_32x32x16_f16 a[176:191], v[240:243], v[60:63], a[176:191]// 000000008D38: D3D580B0 06C279F0
	.long 0x7fc8b3e6                                           // 000000008D40: 7FC8B3E6
	.long 0x7fcab3e7                                           // 000000008D44: 7FCAB3E7
	v_mov_b32_dpp v107, v104 quad_perm:[3,3,3,3] row_mask:0xf bank_mask:0xf// 000000008D48: 7ED602FA FF00FF68
	v_mov_b32_dpp v106, v104 quad_perm:[2,2,2,2] row_mask:0xf bank_mask:0xf// 000000008D50: 7ED402FA FF00AA68
	buffer_atomic_add_f32 v116, v7, s[32:35], 0 offen offset:128// 000000008D58: E1341080 80087407
	v_mfma_f32_32x32x16_f16 a[192:207], v[244:247], v[60:63], a[192:207]// 000000008D60: D3D580C0 070279F4
	ds_read_b64_tr_b16 v[36:37], v14 offset:30720              // 000000008D68: D9C67800 2400000E
	ds_read_b64_tr_b16 v[38:39], v14 offset:30752              // 000000008D70: D9C67820 2600000E
	ds_read_b64_tr_b16 v[40:41], v14 offset:31872              // 000000008D78: D9C67C80 2800000E
	ds_read_b64_tr_b16 v[42:43], v14 offset:31904              // 000000008D80: D9C67CA0 2A00000E
	ds_read_b64_tr_b16 v[44:45], v14 offset:33024              // 000000008D88: D9C68100 2C00000E
	ds_read_b64_tr_b16 v[46:47], v14 offset:33056              // 000000008D90: D9C68120 2E00000E
	v_mfma_f32_16x16x16_f16 a[208:211], v[224:225], v[64:65], a[208:211]// 000000008D98: D3CD80D0 074281E0
	.long 0x7fd0b3ea                                           // 000000008DA0: 7FD0B3EA
	.long 0x7fd2b3eb                                           // 000000008DA4: 7FD2B3EB
	v_mfma_f32_16x16x16_f16 a[212:215], v[226:227], v[64:65], a[212:215]// 000000008DA8: D3CD80D4 075281E2
	ds_read_b64_tr_b16 v[48:49], v14 offset:34176              // 000000008DB0: D9C68580 3000000E
	ds_read_b64_tr_b16 v[50:51], v14 offset:34208              // 000000008DB8: D9C685A0 3200000E
	ds_read_b64_tr_b16 v[52:53], v14 offset:35328              // 000000008DC0: D9C68A00 3400000E
	v_mfma_f32_16x16x16_f16 a[216:219], v[228:229], v[64:65], a[216:219]// 000000008DC8: D3CD80D8 076281E4
	v_permlane16_swap_b32_e32 v236, v238                       // 000000008DD0: 7FD8B3EE
	v_permlane16_swap_b32_e32 v237, v239                       // 000000008DD4: 7FDAB3EF
	buffer_atomic_add_f32 v117, v8, s[32:35], 0 offen offset:128// 000000008DD8: E1341080 80087508
	v_mfma_f32_16x16x16_f16 a[220:223], v[230:231], v[64:65], a[220:223]// 000000008DE0: D3CD80DC 077281E6
	ds_read_b64_tr_b16 v[54:55], v14 offset:35360              // 000000008DE8: D9C68A20 3600000E
	ds_read_b64_tr_b16 v[56:57], v14 offset:36480              // 000000008DF0: D9C68E80 3800000E
	ds_read_b64_tr_b16 v[58:59], v14 offset:36512              // 000000008DF8: D9C68EA0 3A00000E
	v_mfma_f32_16x16x16_f16 a[224:227], v[232:233], v[64:65], a[224:227]// 000000008E00: D3CD80E0 078281E8
	v_permlane16_swap_b32_e32 v240, v242                       // 000000008E08: 7FE0B3F2
	v_permlane16_swap_b32_e32 v241, v243                       // 000000008E0C: 7FE2B3F3
	v_mfma_f32_16x16x16_f16 a[228:231], v[234:235], v[64:65], a[228:231]// 000000008E10: D3CD80E4 079281EA
	ds_read_b64_tr_b16 a[48:49], v21                           // 000000008E18: DBC60000 30000015
	ds_read_b64_tr_b16 a[50:51], v21 offset:256                // 000000008E20: DBC60100 32000015
	ds_read_b64_tr_b16 a[52:53], v21 offset:12288              // 000000008E28: DBC63000 34000015
	v_mfma_f32_16x16x16_f16 a[232:235], v[236:237], v[64:65], a[232:235]// 000000008E30: D3CD80E8 07A281EC
	v_permlane16_swap_b32_e32 v244, v246                       // 000000008E38: 7FE8B3F6
	v_permlane16_swap_b32_e32 v245, v247                       // 000000008E3C: 7FEAB3F7
	v_mfma_f32_16x16x16_f16 a[236:239], v[238:239], v[64:65], a[236:239]// 000000008E40: D3CD80EC 07B281EE
	ds_read_b64_tr_b16 a[54:55], v21 offset:12544              // 000000008E48: DBC63100 36000015
	ds_read_b64_tr_b16 a[56:57], v21 offset:24576              // 000000008E50: DBC66000 38000015
	ds_read_b64_tr_b16 a[58:59], v21 offset:24832              // 000000008E58: DBC66100 3A000015
	v_mfma_f32_16x16x16_f16 a[240:243], v[240:241], v[64:65], a[240:243]// 000000008E60: D3CD80F0 07C281F0
	v_mov_b32_dpp v105, v104 quad_perm:[1,1,1,1] row_mask:0xf bank_mask:0xf// 000000008E68: 7ED202FA FF005568
	buffer_atomic_add_f32 v118, v9, s[32:35], 0 offen offset:128// 000000008E70: E1341080 80087609
	v_mfma_f32_16x16x16_f16 a[244:247], v[242:243], v[64:65], a[244:247]// 000000008E78: D3CD80F4 07D281F2
	ds_read_b64_tr_b16 a[60:61], v21 offset:36864              // 000000008E80: DBC69000 3C000015
	ds_read_b64_tr_b16 a[62:63], v21 offset:37120              // 000000008E88: DBC69100 3E000015
	ds_read_b64_tr_b16 v[248:249], v21 offset:49152            // 000000008E90: D9C6C000 F8000015
	v_mfma_f32_16x16x16_f16 a[248:251], v[244:245], v[64:65], a[248:251]// 000000008E98: D3CD80F8 07E281F4
	v_mov_b32_dpp v104, v104 quad_perm:[0,0,0,0] row_mask:0xf bank_mask:0xf// 000000008EA0: 7ED002FA FF000068
	buffer_atomic_add_f32 v119, v10, s[32:35], 0 offen offset:128// 000000008EA8: E1341080 8008770A
	v_mfma_f32_16x16x16_f16 a[252:255], v[246:247], v[64:65], a[252:255]// 000000008EB0: D3CD80FC 07F281F6
	ds_read_b64_tr_b16 v[250:251], v21 offset:49408            // 000000008EB8: D9C6C100 FA000015
	ds_read_b64_tr_b16 v[252:253], v21 offset:61440            // 000000008EC0: D9C6F000 FC000015
	ds_read_b64_tr_b16 v[254:255], v21 offset:61696            // 000000008EC8: D9C6F100 FE000015
	s_waitcnt vmcnt(12) lgkmcnt(6)                             // 000000008ED0: BF8C067C
	s_barrier                                                  // 000000008ED4: BF8A0000
	v_mfma_f32_16x16x32_f16 v[108:111], v[36:39], a[0:3], 0    // 000000008ED8: D3D4006C 12020124
	s_mov_b32 m0, s84                                          // 000000008EE0: BEFC0054
	buffer_load_dwordx4 v1, s[8:11], 0 idxen lds               // 000000008EE4: E05D2000 80020001
	v_mfma_f32_16x16x32_f16 v[108:111], v[40:43], a[4:7], v[108:111]// 000000008EEC: D3D4006C 15B20928
	ds_read_b128 v[224:227], v12 offset:12288                  // 000000008EF4: D9FE3000 E000000C
	ds_read_b128 v[228:231], v12 offset:13312                  // 000000008EFC: D9FE3400 E400000C
	v_mfma_f32_16x16x32_f16 v[108:111], v[44:47], a[8:11], v[108:111]// 000000008F04: D3D4006C 15B2112C
	s_mov_b32 m0, s85                                          // 000000008F0C: BEFC0055
	buffer_load_dword v2, s[8:11], 0 idxen lds                 // 000000008F10: E0512000 80020002
	v_mfma_f32_16x16x32_f16 v[108:111], v[48:51], a[12:15], v[108:111]// 000000008F18: D3D4006C 15B21930
	ds_read_b128 v[232:235], v12 offset:14336                  // 000000008F20: D9FE3800 E800000C
	ds_read_b128 v[236:239], v12 offset:15360                  // 000000008F28: D9FE3C00 EC00000C
	v_mfma_f32_16x16x32_f16 v[108:111], v[52:55], a[16:19], v[108:111]// 000000008F30: D3D4006C 15B22134
	s_mov_b32 m0, s86                                          // 000000008F38: BEFC0056
	buffer_load_dword v3, s[8:11], 0 idxen lds                 // 000000008F3C: E0512000 80020003
	v_mfma_f32_16x16x32_f16 v[108:111], v[56:59], a[20:23], v[108:111]// 000000008F44: D3D4006C 15B22938
	ds_read_b128 v[240:243], v12 offset:16384                  // 000000008F4C: D9FE4000 F000000C
	ds_read_b128 v[244:247], v12 offset:17408                  // 000000008F54: D9FE4400 F400000C
	v_mfma_f32_16x16x32_f16 v[112:115], v[36:39], a[24:27], 0  // 000000008F5C: D3D40070 12023124
	s_mov_b32 m0, s100                                         // 000000008F64: BEFC0064
	buffer_load_dwordx4 v4, s[20:23], 0 idxen lds              // 000000008F68: E05D2000 80050004
	v_mfma_f32_16x16x32_f16 v[112:115], v[40:43], a[28:31], v[112:115]// 000000008F70: D3D40070 15C23928
	ds_read_b128 a[0:3], v17                                   // 000000008F78: DBFE0000 00000011
	ds_read_b128 a[4:7], v17 offset:1024                       // 000000008F80: DBFE0400 04000011
	v_mfma_f32_16x16x32_f16 v[112:115], v[44:47], a[32:35], v[112:115]// 000000008F88: D3D40070 15C2412C
	v_mul_f32_e32 v108, s47, v108                              // 000000008F90: 0AD8D82F
	v_mul_f32_e32 v109, s47, v109                              // 000000008F94: 0ADADA2F
	s_mov_b32 m0, s79                                          // 000000008F98: BEFC004F
	buffer_load_dword v11, s[24:27], 0 idxen lds               // 000000008F9C: E0512000 8006000B
	v_mfma_f32_16x16x32_f16 v[112:115], v[48:51], a[36:39], v[112:115]// 000000008FA4: D3D40070 15C24930
	ds_read_b128 a[8:11], v17 offset:2048                      // 000000008FAC: DBFE0800 08000011
	ds_read_b128 a[12:15], v17 offset:3072                     // 000000008FB4: DBFE0C00 0C000011
	v_mfma_f32_16x16x32_f16 v[112:115], v[52:55], a[40:43], v[112:115]// 000000008FBC: D3D40070 15C25134
	s_add_u32 s60, 64, s59                                     // 000000008FC4: 803C3BC0
	s_cmp_lt_u32 s60, s58                                      // 000000008FC8: BF0A3A3C
	s_cselect_b32 s68, s68, 0                                  // 000000008FCC: 85448044
	s_cselect_b32 s98, s98, 0                                  // 000000008FD0: 85628062
	s_cselect_b32 s69, s69, 0                                  // 000000008FD4: 85458045
	v_mfma_f32_16x16x32_f16 v[112:115], v[56:59], a[44:47], v[112:115]// 000000008FD8: D3D40070 15C25938
	ds_read_b128 a[16:19], v17 offset:4096                     // 000000008FE0: DBFE1000 10000011
	ds_read_b128 a[20:23], v17 offset:5120                     // 000000008FE8: DBFE1400 14000011
	v_mfma_f32_16x16x32_f16 v[116:119], v[36:39], a[48:51], 0  // 000000008FF0: D3D40074 12026124
	v_add_u32_e32 v1, s68, v1                                  // 000000008FF8: 68020244
	v_add_u32_e32 v2, s68, v2                                  // 000000008FFC: 68040444
	v_add_u32_e32 v3, s68, v3                                  // 000000009000: 68060644
	v_add_u32_e32 v4, s98, v4                                  // 000000009004: 68080862
	v_add_u32_e32 v11, s69, v11                                // 000000009008: 68161645
	v_mfma_f32_16x16x32_f16 v[116:119], v[40:43], a[52:55], v[116:119]// 00000000900C: D3D40074 15D26928
	ds_read_b128 a[24:27], v17 offset:24576                    // 000000009014: DBFE6000 18000011
	ds_read_b128 a[28:31], v17 offset:25600                    // 00000000901C: DBFE6400 1C000011
	s_waitcnt lgkmcnt(14)                                      // 000000009024: BF8CCE7F
	v_mfma_f32_16x16x32_f16 v[116:119], v[44:47], a[56:59], v[116:119]// 000000009028: D3D40074 15D2712C
	v_mul_f32_e32 v110, s47, v110                              // 000000009030: 0ADCDC2F
	v_mul_f32_e32 v111, s47, v111                              // 000000009034: 0ADEDE2F
	s_cmp_ge_u32 s59, s73                                      // 000000009038: BF09493B
	s_cselect_b32 s66, s67, s66                                // 00000000903C: 85424243
	v_mfma_f32_16x16x32_f16 v[116:119], v[48:51], a[60:63], v[116:119]// 000000009040: D3D40074 15D27930
	ds_read_b128 a[32:35], v17 offset:26624                    // 000000009048: DBFE6800 20000011
	ds_read_b128 a[36:39], v17 offset:27648                    // 000000009050: DBFE6C00 24000011
	v_mfma_f32_16x16x32_f16 v[116:119], v[52:55], v[248:251], v[116:119]// 000000009058: D3D40074 05D3F134
	s_addk_i32 s59, 0x10                                       // 000000009060: B73B0010
	v_mul_f32_e32 v112, s47, v112                              // 000000009064: 0AE0E02F
	v_mul_f32_e32 v113, s47, v113                              // 000000009068: 0AE2E22F
	s_cmp_lt_i32 s59, s58                                      // 00000000906C: BF043A3B
	v_mfma_f32_16x16x32_f16 v[116:119], v[56:59], v[252:255], v[116:119]// 000000009070: D3D40074 05D3F938
	ds_read_b128 a[40:43], v17 offset:28672                    // 000000009078: DBFE7000 28000011
	ds_read_b128 a[44:47], v17 offset:29696                    // 000000009080: DBFE7400 2C000011
	s_cbranch_scc0 label_0E97                                  // 000000009088: BF84FA65
	s_waitcnt lgkmcnt(2)                                       // 00000000908C: BF8CC27F
	v_mfma_f32_16x16x32_f16 v[36:39], v[224:227], a[0:3], 0    // 000000009090: D3D40024 120201E0
	v_add_u32_e32 v7, s66, v7                                  // 000000009098: 680E0E42
	v_add_u32_e32 v8, s66, v8                                  // 00000000909C: 68101042
	v_mfma_f32_16x16x32_f16 v[36:39], v[228:231], a[4:7], v[36:39]// 0000000090A0: D3D40024 149209E4
	ds_read_b128 a[48:51], v17 offset:49152                    // 0000000090A8: DBFEC000 30000011
	ds_read_b128 a[52:55], v17 offset:50176                    // 0000000090B0: DBFEC400 34000011
	v_mfma_f32_16x16x32_f16 v[36:39], v[232:235], a[8:11], v[36:39]// 0000000090B8: D3D40024 149211E8
	v_add_u32_e32 v9, s66, v9                                  // 0000000090C0: 68121242
	v_add_u32_e32 v10, s66, v10                                // 0000000090C4: 68141442
	v_mfma_f32_16x16x32_f16 v[36:39], v[236:239], a[12:15], v[36:39]// 0000000090C8: D3D40024 149219EC
	ds_read_b128 a[56:59], v17 offset:51200                    // 0000000090D0: DBFEC800 38000011
	ds_read_b128 a[60:63], v17 offset:52224                    // 0000000090D8: DBFECC00 3C000011
	v_mfma_f32_16x16x32_f16 v[36:39], v[240:243], a[16:19], v[36:39]// 0000000090E0: D3D40024 149221F0
	v_mul_f32_e32 v114, s47, v114                              // 0000000090E8: 0AE4E42F
	v_mul_f32_e32 v115, s47, v115                              // 0000000090EC: 0AE6E62F
	v_mfma_f32_16x16x32_f16 v[36:39], v[244:247], a[20:23], v[36:39]// 0000000090F0: D3D40024 149229F4
	ds_read_b128 v[248:251], v17 offset:53248                  // 0000000090F8: D9FED000 F8000011
	ds_read_b128 v[252:255], v17 offset:54272                  // 000000009100: D9FED400 FC000011
	v_mfma_f32_16x16x32_f16 v[40:43], v[224:227], a[24:27], 0  // 000000009108: D3D40028 120231E0
	v_mul_f32_e32 v116, s47, v116                              // 000000009110: 0AE8E82F
	v_mul_f32_e32 v117, s47, v117                              // 000000009114: 0AEAEA2F
	v_mfma_f32_16x16x32_f16 v[40:43], v[228:231], a[28:31], v[40:43]// 000000009118: D3D40028 14A239E4
	ds_read_b128 v[72:75], v12 offset:26624                    // 000000009120: D9FE6800 4800000C
	ds_read_b128 v[76:79], v12 offset:27648                    // 000000009128: D9FE6C00 4C00000C
	v_mfma_f32_16x16x32_f16 v[40:43], v[232:235], a[32:35], v[40:43]// 000000009130: D3D40028 14A241E8
	v_mul_f32_e32 v118, s47, v118                              // 000000009138: 0AECEC2F
	v_mul_f32_e32 v119, s47, v119                              // 00000000913C: 0AEEEE2F
	buffer_atomic_add_f32 v108, v7, s[32:35], 0 offen          // 000000009140: E1341000 80086C07
	v_mfma_f32_16x16x32_f16 v[40:43], v[236:239], a[36:39], v[40:43]// 000000009148: D3D40028 14A249EC
	ds_read_b128 v[80:83], v12 offset:28672                    // 000000009150: D9FE7000 5000000C
	ds_read_b128 v[84:87], v12 offset:29696                    // 000000009158: D9FE7400 5400000C
	s_waitcnt lgkmcnt(10)                                      // 000000009160: BF8CCA7F
	v_mfma_f32_16x16x32_f16 v[40:43], v[240:243], a[40:43], v[40:43]// 000000009164: D3D40028 14A251F0
	v_fma_f32 v36, v36, s57, -v104                             // 00000000916C: D1CB0024 85A07324
	v_fma_f32 v37, v37, s57, -v105                             // 000000009174: D1CB0025 85A47325
	v_mfma_f32_16x16x32_f16 v[40:43], v[244:247], a[44:47], v[40:43]// 00000000917C: D3D40028 14A259F4
	ds_read_b64_tr_b16 v[88:89], v13 offset:26624              // 000000009184: D9C66800 5800000D
	ds_read_b64_tr_b16 v[90:91], v13 offset:26880              // 00000000918C: D9C66900 5A00000D
	s_waitcnt lgkmcnt(10)                                      // 000000009194: BF8CCA7F
	v_mfma_f32_16x16x32_f16 v[44:47], v[224:227], a[48:51], 0  // 000000009198: D3D4002C 120261E0
	v_fma_f32 v38, v38, s57, -v106                             // 0000000091A0: D1CB0026 85A87326
	v_fma_f32 v39, v39, s57, -v107                             // 0000000091A8: D1CB0027 85AC7327
	v_mfma_f32_16x16x32_f16 v[44:47], v[228:231], a[52:55], v[44:47]// 0000000091B0: D3D4002C 14B269E4
	ds_read_b64_tr_b16 v[92:93], v13 offset:27648              // 0000000091B8: D9C66C00 5C00000D
	ds_read_b64_tr_b16 v[94:95], v13 offset:27904              // 0000000091C0: D9C66D00 5E00000D
	s_waitcnt lgkmcnt(10)                                      // 0000000091C8: BF8CCA7F
	v_mfma_f32_16x16x32_f16 v[44:47], v[232:235], a[56:59], v[44:47]// 0000000091CC: D3D4002C 14B271E8
	v_fma_f32 v40, v40, s57, -v104                             // 0000000091D4: D1CB0028 85A07328
	v_fma_f32 v41, v41, s57, -v105                             // 0000000091DC: D1CB0029 85A47329
	buffer_atomic_add_f32 v109, v8, s[32:35], 0 offen          // 0000000091E4: E1341000 80086D08
	v_mfma_f32_16x16x32_f16 v[44:47], v[236:239], a[60:63], v[44:47]// 0000000091EC: D3D4002C 14B279EC
	ds_read_b64_tr_b16 v[96:97], v13 offset:28672              // 0000000091F4: D9C67000 6000000D
	ds_read_b64_tr_b16 v[98:99], v13 offset:28928              // 0000000091FC: D9C67100 6200000D
	s_waitcnt lgkmcnt(10)                                      // 000000009204: BF8CCA7F
	v_mfma_f32_16x16x32_f16 v[44:47], v[240:243], v[248:251], v[44:47]// 000000009208: D3D4002C 04B3F1F0
	v_fma_f32 v42, v42, s57, -v106                             // 000000009210: D1CB002A 85A8732A
	v_fma_f32 v43, v43, s57, -v107                             // 000000009218: D1CB002B 85AC732B
	v_mfma_f32_16x16x32_f16 v[44:47], v[244:247], v[252:255], v[44:47]// 000000009220: D3D4002C 04B3F9F4
	ds_read_b64_tr_b16 v[100:101], v13 offset:29696            // 000000009228: D9C67400 6400000D
	ds_read_b64_tr_b16 v[102:103], v13 offset:29952            // 000000009230: D9C67500 6600000D
	s_cmp_eq_i32 s90, 0                                        // 000000009238: BF00805A
	s_cbranch_scc1 label_153D                                  // 00000000923C: BF85008F
	s_cmp_lt_i32 s74, 12                                       // 000000009240: BF048C4A
	s_cbranch_scc0 label_14E8                                  // 000000009244: BF84003D
	s_lshl_b32 s60, s74, 4                                     // 000000009248: 8E3C844A
	v_sub_i32 v32, v24, s60                                    // 00000000924C: D29D0020 00007918
	s_mov_b32 s61, 0                                           // 000000009254: BEBD0080
	v_add_i32 v33, v32, s61                                    // 000000009258: D29C0021 00007B20
	v_cmp_gt_i32_e64 s[60:61], v33, 0                          // 000000009260: D0C4003C 00010121
	v_cmp_gt_i32_e64 s[92:93], v33, 1                          // 000000009268: D0C4005C 00010321
	v_cndmask_b32_e64 v36, v36, v127, s[60:61]                 // 000000009270: D1000024 00F2FF24
	v_cndmask_b32_e64 v37, v37, v127, s[92:93]                 // 000000009278: D1000025 0172FF25
	v_cmp_gt_i32_e64 s[60:61], v33, 2                          // 000000009280: D0C4003C 00010521
	v_cmp_gt_i32_e64 s[92:93], v33, 3                          // 000000009288: D0C4005C 00010721
	v_cndmask_b32_e64 v38, v38, v127, s[60:61]                 // 000000009290: D1000026 00F2FF26
	v_cndmask_b32_e64 v39, v39, v127, s[92:93]                 // 000000009298: D1000027 0172FF27
	s_mov_b32 s61, 64                                          // 0000000092A0: BEBD00C0
	v_add_i32 v33, v32, s61                                    // 0000000092A4: D29C0021 00007B20
	v_cmp_gt_i32_e64 s[60:61], v33, 0                          // 0000000092AC: D0C4003C 00010121
	v_cmp_gt_i32_e64 s[92:93], v33, 1                          // 0000000092B4: D0C4005C 00010321
	v_cndmask_b32_e64 v40, v40, v127, s[60:61]                 // 0000000092BC: D1000028 00F2FF28
	v_cndmask_b32_e64 v41, v41, v127, s[92:93]                 // 0000000092C4: D1000029 0172FF29
	v_cmp_gt_i32_e64 s[60:61], v33, 2                          // 0000000092CC: D0C4003C 00010521
	v_cmp_gt_i32_e64 s[92:93], v33, 3                          // 0000000092D4: D0C4005C 00010721
	v_cndmask_b32_e64 v42, v42, v127, s[60:61]                 // 0000000092DC: D100002A 00F2FF2A
	v_cndmask_b32_e64 v43, v43, v127, s[92:93]                 // 0000000092E4: D100002B 0172FF2B
	s_mov_b32 s61, 0x80                                        // 0000000092EC: BEBD00FF 00000080
	v_add_i32 v33, v32, s61                                    // 0000000092F4: D29C0021 00007B20
	v_cmp_gt_i32_e64 s[60:61], v33, 0                          // 0000000092FC: D0C4003C 00010121
	v_cmp_gt_i32_e64 s[92:93], v33, 1                          // 000000009304: D0C4005C 00010321
	v_cndmask_b32_e64 v44, v44, v127, s[60:61]                 // 00000000930C: D100002C 00F2FF2C
	v_cndmask_b32_e64 v45, v45, v127, s[92:93]                 // 000000009314: D100002D 0172FF2D
	v_cmp_gt_i32_e64 s[60:61], v33, 2                          // 00000000931C: D0C4003C 00010521
	v_cmp_gt_i32_e64 s[92:93], v33, 3                          // 000000009324: D0C4005C 00010721
	v_cndmask_b32_e64 v46, v46, v127, s[60:61]                 // 00000000932C: D100002E 00F2FF2E
	v_cndmask_b32_e64 v47, v47, v127, s[92:93]                 // 000000009334: D100002F 0172FF2F

000000000000933c <label_14E8>:
	s_cmp_lt_i32 s64, 0xc0                                     // 00000000933C: BF04FF40 000000C0
	s_cbranch_scc0 label_153D                                  // 000000009344: BF84004D
	s_cmp_le_i32 s64, 64                                       // 000000009348: BF05C040
	s_cbranch_scc1 label_14F4                                  // 00000000934C: BF850007
	s_cmp_le_i32 s64, 0x80                                     // 000000009350: BF05FF40 00000080
	s_cbranch_scc1 label_150C                                  // 000000009358: BF850017
	s_cmp_lt_i32 s64, 0xc0                                     // 00000000935C: BF04FF40 000000C0
	s_cbranch_scc1 label_1524                                  // 000000009364: BF85002C
	s_branch label_153D                                        // 000000009368: BF820044

000000000000936c <label_14F4>:
	s_mov_b32 s60, 0                                           // 00000000936C: BEBC0080
	v_and_b32_e32 v32, 15, v0                                  // 000000009370: 2640008F
	v_add_u32_e64 v32, v32, s60                                // 000000009374: D1340020 00007920
	v_mul_i32_i24_e64 v33, s46, 16                             // 00000000937C: D1060021 0001202E
	v_add_u32_e32 v32, v32, v33                                // 000000009384: 68404320
	v_cmp_lt_u32_e64 s[60:61], v32, s64                        // 000000009388: D0C9003C 00008120
	s_nop 1                                                    // 000000009390: BF800001
	v_cndmask_b32_e64 v36, v127, v36, s[60:61]                 // 000000009394: D1000024 00F2497F
	v_cndmask_b32_e64 v37, v127, v37, s[60:61]                 // 00000000939C: D1000025 00F24B7F
	v_cndmask_b32_e64 v38, v127, v38, s[60:61]                 // 0000000093A4: D1000026 00F24D7F
	v_cndmask_b32_e64 v39, v127, v39, s[60:61]                 // 0000000093AC: D1000027 00F24F7F
	s_branch label_151F                                        // 0000000093B4: BF820013

00000000000093b8 <label_150C>:
	s_mov_b32 s60, 64                                          // 0000000093B8: BEBC00C0
	v_and_b32_e32 v32, 15, v0                                  // 0000000093BC: 2640008F
	v_add_u32_e64 v32, v32, s60                                // 0000000093C0: D1340020 00007920
	v_mul_i32_i24_e64 v33, s46, 16                             // 0000000093C8: D1060021 0001202E
	v_add_u32_e32 v32, v32, v33                                // 0000000093D0: 68404320
	v_cmp_lt_u32_e64 s[60:61], v32, s64                        // 0000000093D4: D0C9003C 00008120
	s_nop 1                                                    // 0000000093DC: BF800001
	v_cndmask_b32_e64 v40, v127, v40, s[60:61]                 // 0000000093E0: D1000028 00F2517F
	v_cndmask_b32_e64 v41, v127, v41, s[60:61]                 // 0000000093E8: D1000029 00F2537F
	v_cndmask_b32_e64 v42, v127, v42, s[60:61]                 // 0000000093F0: D100002A 00F2557F
	v_cndmask_b32_e64 v43, v127, v43, s[60:61]                 // 0000000093F8: D100002B 00F2577F
	s_branch label_1538                                        // 000000009400: BF820019

0000000000009404 <label_151F>:
	v_mov_b32_e32 v40, v127                                    // 000000009404: 7E50037F
	v_mov_b32_e32 v41, v127                                    // 000000009408: 7E52037F
	v_mov_b32_e32 v42, v127                                    // 00000000940C: 7E54037F
	v_mov_b32_e32 v43, v127                                    // 000000009410: 7E56037F
	s_branch label_1538                                        // 000000009414: BF820014

0000000000009418 <label_1524>:
	s_mov_b32 s60, 0x80                                        // 000000009418: BEBC00FF 00000080
	v_and_b32_e32 v32, 15, v0                                  // 000000009420: 2640008F
	v_add_u32_e64 v32, v32, s60                                // 000000009424: D1340020 00007920
	v_mul_i32_i24_e64 v33, s46, 16                             // 00000000942C: D1060021 0001202E
	v_add_u32_e32 v32, v32, v33                                // 000000009434: 68404320
	v_cmp_lt_u32_e64 s[60:61], v32, s64                        // 000000009438: D0C9003C 00008120
	s_nop 1                                                    // 000000009440: BF800001
	v_cndmask_b32_e64 v44, v127, v44, s[60:61]                 // 000000009444: D100002C 00F2597F
	v_cndmask_b32_e64 v45, v127, v45, s[60:61]                 // 00000000944C: D100002D 00F25B7F
	v_cndmask_b32_e64 v46, v127, v46, s[60:61]                 // 000000009454: D100002E 00F25D7F
	v_cndmask_b32_e64 v47, v127, v47, s[60:61]                 // 00000000945C: D100002F 00F25F7F
	s_branch label_153D                                        // 000000009464: BF820005

0000000000009468 <label_1538>:
	v_mov_b32_e32 v44, v127                                    // 000000009468: 7E58037F
	v_mov_b32_e32 v45, v127                                    // 00000000946C: 7E5A037F
	v_mov_b32_e32 v46, v127                                    // 000000009470: 7E5C037F
	v_mov_b32_e32 v47, v127                                    // 000000009474: 7E5E037F
	s_branch label_153D                                        // 000000009478: BF820000

000000000000947c <label_153D>:
	s_addk_i32 s74, 0x1                                        // 00000000947C: B74A0001
	s_waitcnt lgkmcnt(8)                                       // 000000009480: BF8CC87F
	v_mfma_f32_16x16x32_f16 v[60:63], v[72:75], a[64:67], 0    // 000000009484: D3D4003C 12028148
	v_exp_f32_e32 v36, v36                                     // 00000000948C: 7E484124
	v_exp_f32_e32 v37, v37                                     // 000000009490: 7E4A4125
	v_mfma_f32_16x16x32_f16 v[60:63], v[76:79], a[68:71], v[60:63]// 000000009494: D3D4003C 14F2894C
	v_exp_f32_e32 v38, v38                                     // 00000000949C: 7E4C4126
	v_exp_f32_e32 v39, v39                                     // 0000000094A0: 7E4E4127
	v_mfma_f32_16x16x32_f16 v[60:63], v[80:83], a[72:75], v[60:63]// 0000000094A4: D3D4003C 14F29150
	v_fma_f32 v44, v44, s57, -v104                             // 0000000094AC: D1CB002C 85A0732C
	v_fma_f32 v45, v45, s57, -v105                             // 0000000094B4: D1CB002D 85A4732D
	v_exp_f32_e32 v40, v40                                     // 0000000094BC: 7E504128
	v_exp_f32_e32 v41, v41                                     // 0000000094C0: 7E524129
	buffer_atomic_add_f32 v110, v9, s[32:35], 0 offen          // 0000000094C4: E1341000 80086E09
	v_mfma_f32_16x16x32_f16 v[60:63], v[84:87], a[76:79], v[60:63]// 0000000094CC: D3D4003C 14F29954
	ds_read_b64_tr_b16 v[224:225], v13 offset:12288            // 0000000094D4: D9C63000 E000000D
	ds_read_b64_tr_b16 v[226:227], v13 offset:12544            // 0000000094DC: D9C63100 E200000D
	ds_read_b64_tr_b16 v[228:229], v13 offset:13312            // 0000000094E4: D9C63400 E400000D
	ds_read_b64_tr_b16 v[230:231], v13 offset:13568            // 0000000094EC: D9C63500 E600000D
	v_mfma_f32_16x16x32_f16 v[64:67], v[72:75], a[80:83], 0    // 0000000094F4: D3D40040 1202A148
	v_fma_f32 v46, v46, s57, -v106                             // 0000000094FC: D1CB002E 85A8732E
	v_fma_f32 v47, v47, s57, -v107                             // 000000009504: D1CB002F 85AC732F
	v_exp_f32_e32 v42, v42                                     // 00000000950C: 7E54412A
	v_exp_f32_e32 v43, v43                                     // 000000009510: 7E56412B
	v_mfma_f32_16x16x32_f16 v[64:67], v[76:79], a[84:87], v[64:67]// 000000009514: D3D40040 1502A94C
	ds_read_b64_tr_b16 v[232:233], v13 offset:14336            // 00000000951C: D9C63800 E800000D
	ds_read_b64_tr_b16 v[234:235], v13 offset:14592            // 000000009524: D9C63900 EA00000D
	ds_read_b64_tr_b16 v[236:237], v13 offset:15360            // 00000000952C: D9C63C00 EC00000D
	ds_read_b64_tr_b16 v[238:239], v13 offset:15616            // 000000009534: D9C63D00 EE00000D
	v_mfma_f32_16x16x32_f16 v[64:67], v[80:83], a[88:91], v[64:67]// 00000000953C: D3D40040 1502B150
	v_exp_f32_e32 v44, v44                                     // 000000009544: 7E58412C
	v_exp_f32_e32 v45, v45                                     // 000000009548: 7E5A412D
	v_mfma_f32_16x16x32_f16 v[64:67], v[84:87], a[92:95], v[64:67]// 00000000954C: D3D40040 1502B954
	v_cvt_pk_f16_f32 v120, v36, v37                            // 000000009554: D2670078 00024B24
	v_cvt_pk_f16_f32 v121, v38, v39                            // 00000000955C: D2670079 00024F26
	v_cvt_pk_f16_f32 v122, v40, v41                            // 000000009564: D267007A 00025328
	v_cvt_pk_f16_f32 v123, v42, v43                            // 00000000956C: D267007B 0002572A
	v_mfma_f32_16x16x32_f16 v[68:71], v[72:75], a[96:99], 0    // 000000009574: D3D40044 1202C148
	v_exp_f32_e32 v46, v46                                     // 00000000957C: 7E5C412E
	v_exp_f32_e32 v47, v47                                     // 000000009580: 7E5E412F
	v_mfma_f32_16x16x32_f16 v[68:71], v[76:79], a[100:103], v[68:71]// 000000009584: D3D40044 1512C94C
	v_permlane16_swap_b32_e32 v120, v122                       // 00000000958C: 7EF0B37A
	v_permlane16_swap_b32_e32 v121, v123                       // 000000009590: 7EF2B37B
	v_mfma_f32_16x16x32_f16 v[68:71], v[80:83], a[104:107], v[68:71]// 000000009594: D3D40044 1512D150
	v_cvt_pk_f16_f32 v124, v44, v45                            // 00000000959C: D267007C 00025B2C
	v_cvt_pk_f16_f32 v125, v46, v47                            // 0000000095A4: D267007D 00025F2E
	buffer_atomic_add_f32 v111, v10, s[32:35], 0 offen         // 0000000095AC: E1341000 80086F0A
	v_mfma_f32_16x16x32_f16 v[68:71], v[84:87], a[108:111], v[68:71]// 0000000095B4: D3D40044 1512D954
	ds_read_b64_tr_b16 v[240:241], v13 offset:16384            // 0000000095BC: D9C64000 F000000D
	ds_read_b64_tr_b16 v[242:243], v13 offset:16640            // 0000000095C4: D9C64100 F200000D
	ds_read_b64_tr_b16 v[244:245], v13 offset:17408            // 0000000095CC: D9C64400 F400000D
	ds_read_b64_tr_b16 v[246:247], v13 offset:17664            // 0000000095D4: D9C64500 F600000D
	s_waitcnt lgkmcnt(12)                                      // 0000000095DC: BF8CCC7F
	v_mfma_f32_32x32x16_f16 v[128:143], v[88:91], v[120:123], v[128:143]// 0000000095E0: D3D50080 0602F158
	v_subrev_f32_dpp v60, v126, v60 quad_perm:[0,0,0,0] row_mask:0xf bank_mask:0xf// 0000000095E8: 067878FA FF00007E
	v_subrev_f32_dpp v61, v126, v61 quad_perm:[1,1,1,1] row_mask:0xf bank_mask:0xf// 0000000095F0: 067A7AFA FF00557E
	v_subrev_f32_dpp v62, v126, v62 quad_perm:[2,2,2,2] row_mask:0xf bank_mask:0xf// 0000000095F8: 067C7CFA FF00AA7E
	v_subrev_f32_dpp v63, v126, v63 quad_perm:[3,3,3,3] row_mask:0xf bank_mask:0xf// 000000009600: 067E7EFA FF00FF7E
	v_subrev_f32_dpp v64, v126, v64 quad_perm:[0,0,0,0] row_mask:0xf bank_mask:0xf// 000000009608: 068080FA FF00007E
	v_subrev_f32_dpp v65, v126, v65 quad_perm:[1,1,1,1] row_mask:0xf bank_mask:0xf// 000000009610: 068282FA FF00557E
	v_subrev_f32_dpp v66, v126, v66 quad_perm:[2,2,2,2] row_mask:0xf bank_mask:0xf// 000000009618: 068484FA FF00AA7E
	v_subrev_f32_dpp v67, v126, v67 quad_perm:[3,3,3,3] row_mask:0xf bank_mask:0xf// 000000009620: 068686FA FF00FF7E
	v_mul_f32_e32 v60, v36, v60                                // 000000009628: 0A787924
	v_mul_f32_e32 v61, v37, v61                                // 00000000962C: 0A7A7B25
	v_mul_f32_e32 v62, v38, v62                                // 000000009630: 0A7C7D26
	v_mul_f32_e32 v63, v39, v63                                // 000000009634: 0A7E7F27
	v_mfma_f32_32x32x16_f16 v[144:159], v[92:95], v[120:123], v[144:159]// 000000009638: D3D50090 0642F15C
	ds_read_b64_tr_b16 a[0:1], v19                             // 000000009640: DBC60000 00000013
	ds_read_b64_tr_b16 a[2:3], v19 offset:256                  // 000000009648: DBC60100 02000013
	ds_read_b64_tr_b16 a[4:5], v19 offset:12288                // 000000009650: DBC63000 04000013
	ds_read_b64_tr_b16 a[6:7], v19 offset:12544                // 000000009658: DBC63100 06000013
	ds_read_b64_tr_b16 a[8:9], v19 offset:24576                // 000000009660: DBC66000 08000013
	buffer_atomic_add_f32 v112, v7, s[32:35], 0 offen offset:64// 000000009668: E1341040 80087007
	v_mfma_f32_32x32x16_f16 v[160:175], v[96:99], v[120:123], v[160:175]// 000000009670: D3D500A0 0682F160
	v_mul_f32_e32 v64, v40, v64                                // 000000009678: 0A808128
	v_mul_f32_e32 v65, v41, v65                                // 00000000967C: 0A828329
	v_mul_f32_e32 v66, v42, v66                                // 000000009680: 0A84852A
	v_mul_f32_e32 v67, v43, v67                                // 000000009684: 0A86872B
	v_permlane16_swap_b32_e32 v88, v90                         // 000000009688: 7EB0B35A
	v_permlane16_swap_b32_e32 v89, v91                         // 00000000968C: 7EB2B35B
	v_cvt_pk_f16_f32 v60, v60, v61                             // 000000009690: D267003C 00027B3C
	v_cvt_pk_f16_f32 v61, v62, v63                             // 000000009698: D267003D 00027F3E
	v_cvt_pk_f16_f32 v62, v64, v65                             // 0000000096A0: D267003E 00028340
	v_cvt_pk_f16_f32 v63, v66, v67                             // 0000000096A8: D267003F 00028742
	v_permlane16_swap_b32_e32 v92, v94                         // 0000000096B0: 7EB8B35E
	v_permlane16_swap_b32_e32 v93, v95                         // 0000000096B4: 7EBAB35F
	v_mfma_f32_32x32x16_f16 v[176:191], v[100:103], v[120:123], v[176:191]// 0000000096B8: D3D500B0 06C2F164
	ds_read_b64_tr_b16 a[10:11], v19 offset:24832              // 0000000096C0: DBC66100 0A000013
	ds_read_b64_tr_b16 a[12:13], v19 offset:36864              // 0000000096C8: DBC69000 0C000013
	ds_read_b64_tr_b16 a[14:15], v19 offset:37120              // 0000000096D0: DBC69100 0E000013
	ds_read_b64_tr_b16 a[16:17], v19 offset:49152              // 0000000096D8: DBC6C000 10000013
	ds_read_b64_tr_b16 a[18:19], v19 offset:49408              // 0000000096E0: DBC6C100 12000013
	ds_read_b32 v104, v16 offset:37632                         // 0000000096E8: D86C9300 68000010
	v_mfma_f32_16x16x16_f16 v[192:195], v[88:89], v[124:125], v[192:195]// 0000000096F0: D3CD00C0 0702F958
	v_permlane16_swap_b32_e32 v96, v98                         // 0000000096F8: 7EC0B362
	v_permlane16_swap_b32_e32 v97, v99                         // 0000000096FC: 7EC2B363
	v_subrev_f32_dpp v68, v126, v68 quad_perm:[0,0,0,0] row_mask:0xf bank_mask:0xf// 000000009700: 068888FA FF00007E
	v_subrev_f32_dpp v69, v126, v69 quad_perm:[1,1,1,1] row_mask:0xf bank_mask:0xf// 000000009708: 068A8AFA FF00557E
	v_mfma_f32_16x16x16_f16 v[196:199], v[90:91], v[124:125], v[196:199]// 000000009710: D3CD00C4 0712F95A
	buffer_atomic_add_f32 v113, v8, s[32:35], 0 offen offset:64// 000000009718: E1341040 80087108
	ds_write_b64 v15, v[60:61] offset:30720                    // 000000009720: D89A7800 00003C0F
	ds_write_b64 v15, v[62:63] offset:33024                    // 000000009728: D89A8100 00003E0F
	v_mfma_f32_16x16x16_f16 v[200:203], v[92:93], v[124:125], v[200:203]// 000000009730: D3CD00C8 0722F95C
	v_permlane16_swap_b32_e32 v100, v102                       // 000000009738: 7EC8B366
	v_permlane16_swap_b32_e32 v101, v103                       // 00000000973C: 7ECAB367
	v_subrev_f32_dpp v70, v126, v70 quad_perm:[2,2,2,2] row_mask:0xf bank_mask:0xf// 000000009740: 068C8CFA FF00AA7E
	v_subrev_f32_dpp v71, v126, v71 quad_perm:[3,3,3,3] row_mask:0xf bank_mask:0xf// 000000009748: 068E8EFA FF00FF7E
	v_mfma_f32_16x16x16_f16 v[204:207], v[94:95], v[124:125], v[204:207]// 000000009750: D3CD00CC 0732F95E
	v_permlane16_swap_b32_e32 v60, v62                         // 000000009758: 7E78B33E
	v_permlane16_swap_b32_e32 v61, v63                         // 00000000975C: 7E7AB33F
	v_mfma_f32_16x16x16_f16 v[208:211], v[96:97], v[124:125], v[208:211]// 000000009760: D3CD00D0 0742F960
	v_mul_f32_e32 v68, v44, v68                                // 000000009768: 0A88892C
	v_mul_f32_e32 v69, v45, v69                                // 00000000976C: 0A8A8B2D
	v_mul_f32_e32 v70, v46, v70                                // 000000009770: 0A8C8D2E
	v_mfma_f32_16x16x16_f16 v[212:215], v[98:99], v[124:125], v[212:215]// 000000009774: D3CD00D4 0752F962
	ds_read_b64_tr_b16 a[20:21], v19 offset:61440              // 00000000977C: DBC6F000 14000013
	ds_read_b64_tr_b16 a[22:23], v19 offset:61696              // 000000009784: DBC6F100 16000013
	ds_read_b64_tr_b16 a[24:25], v20                           // 00000000978C: DBC60000 18000014
	v_mfma_f32_16x16x16_f16 v[216:219], v[100:101], v[124:125], v[216:219]// 000000009794: D3CD00D8 0762F964
	v_mul_f32_e32 v71, v47, v71                                // 00000000979C: 0A8E8F2F
	v_cvt_pk_f16_f32 v64, v68, v69                             // 0000000097A0: D2670040 00028B44
	v_cvt_pk_f16_f32 v65, v70, v71                             // 0000000097A8: D2670041 00028F46
	v_mfma_f32_16x16x16_f16 v[220:223], v[102:103], v[124:125], v[220:223]// 0000000097B0: D3CD00DC 0772F966
	ds_read_b32 v126, v16 offset:37888                         // 0000000097B8: D86C9400 7E000010
	ds_read_b64_tr_b16 a[26:27], v20 offset:256                // 0000000097C0: DBC60100 1A000014
	ds_read_b64_tr_b16 a[28:29], v20 offset:12288              // 0000000097C8: DBC63000 1C000014
	s_waitcnt lgkmcnt(8)                                       // 0000000097D0: BF8CC87F
	v_mfma_f32_32x32x16_f16 a[112:127], v[224:227], v[60:63], a[112:127]// 0000000097D4: D3D58070 05C279E0
	v_mul_f32_e32 v104, s48, v104                              // 0000000097DC: 0AD0D030
	buffer_atomic_add_f32 v114, v9, s[32:35], 0 offen offset:64// 0000000097E0: E1341040 80087209
	v_mfma_f32_32x32x16_f16 a[128:143], v[228:231], v[60:63], a[128:143]// 0000000097E8: D3D58080 060279E4
	ds_read_b64_tr_b16 a[30:31], v20 offset:12544              // 0000000097F0: DBC63100 1E000014
	ds_write_b64 v15, v[64:65] offset:35328                    // 0000000097F8: D89A8A00 0000400F
	ds_read_b64_tr_b16 a[32:33], v20 offset:24576              // 000000009800: DBC66000 20000014
	ds_read_b64_tr_b16 a[34:35], v20 offset:24832              // 000000009808: DBC66100 22000014
	v_mfma_f32_32x32x16_f16 a[144:159], v[232:235], v[60:63], a[144:159]// 000000009810: D3D58090 064279E8
	.long 0x7fc0b3e2                                           // 000000009818: 7FC0B3E2
	.long 0x7fc2b3e3                                           // 00000000981C: 7FC2B3E3
	buffer_atomic_add_f32 v115, v10, s[32:35], 0 offen offset:64// 000000009820: E1341040 8008730A
	v_mfma_f32_32x32x16_f16 a[160:175], v[236:239], v[60:63], a[160:175]// 000000009828: D3D580A0 068279EC
	ds_read_b64_tr_b16 a[36:37], v20 offset:36864              // 000000009830: DBC69000 24000014
	ds_read_b64_tr_b16 a[38:39], v20 offset:37120              // 000000009838: DBC69100 26000014
	ds_read_b64_tr_b16 a[40:41], v20 offset:49152              // 000000009840: DBC6C000 28000014
	ds_read_b64_tr_b16 a[42:43], v20 offset:49408              // 000000009848: DBC6C100 2A000014
	ds_read_b64_tr_b16 a[44:45], v20 offset:61440              // 000000009850: DBC6F000 2C000014
	ds_read_b64_tr_b16 a[46:47], v20 offset:61696              // 000000009858: DBC6F100 2E000014
	s_waitcnt lgkmcnt(8)                                       // 000000009860: BF8CC87F
	s_barrier                                                  // 000000009864: BF8A0000
	v_mfma_f32_32x32x16_f16 a[176:191], v[240:243], v[60:63], a[176:191]// 000000009868: D3D580B0 06C279F0
	.long 0x7fc8b3e6                                           // 000000009870: 7FC8B3E6
	.long 0x7fcab3e7                                           // 000000009874: 7FCAB3E7
	v_mov_b32_dpp v107, v104 quad_perm:[3,3,3,3] row_mask:0xf bank_mask:0xf// 000000009878: 7ED602FA FF00FF68
	v_mov_b32_dpp v106, v104 quad_perm:[2,2,2,2] row_mask:0xf bank_mask:0xf// 000000009880: 7ED402FA FF00AA68
	buffer_atomic_add_f32 v116, v7, s[32:35], 0 offen offset:128// 000000009888: E1341080 80087407
	v_mfma_f32_32x32x16_f16 a[192:207], v[244:247], v[60:63], a[192:207]// 000000009890: D3D580C0 070279F4
	ds_read_b64_tr_b16 v[36:37], v14 offset:30720              // 000000009898: D9C67800 2400000E
	ds_read_b64_tr_b16 v[38:39], v14 offset:30752              // 0000000098A0: D9C67820 2600000E
	ds_read_b64_tr_b16 v[40:41], v14 offset:31872              // 0000000098A8: D9C67C80 2800000E
	ds_read_b64_tr_b16 v[42:43], v14 offset:31904              // 0000000098B0: D9C67CA0 2A00000E
	ds_read_b64_tr_b16 v[44:45], v14 offset:33024              // 0000000098B8: D9C68100 2C00000E
	ds_read_b64_tr_b16 v[46:47], v14 offset:33056              // 0000000098C0: D9C68120 2E00000E
	v_mfma_f32_16x16x16_f16 a[208:211], v[224:225], v[64:65], a[208:211]// 0000000098C8: D3CD80D0 074281E0
	.long 0x7fd0b3ea                                           // 0000000098D0: 7FD0B3EA
	.long 0x7fd2b3eb                                           // 0000000098D4: 7FD2B3EB
	v_mfma_f32_16x16x16_f16 a[212:215], v[226:227], v[64:65], a[212:215]// 0000000098D8: D3CD80D4 075281E2
	ds_read_b64_tr_b16 v[48:49], v14 offset:34176              // 0000000098E0: D9C68580 3000000E
	ds_read_b64_tr_b16 v[50:51], v14 offset:34208              // 0000000098E8: D9C685A0 3200000E
	ds_read_b64_tr_b16 v[52:53], v14 offset:35328              // 0000000098F0: D9C68A00 3400000E
	v_mfma_f32_16x16x16_f16 a[216:219], v[228:229], v[64:65], a[216:219]// 0000000098F8: D3CD80D8 076281E4
	v_permlane16_swap_b32_e32 v236, v238                       // 000000009900: 7FD8B3EE
	v_permlane16_swap_b32_e32 v237, v239                       // 000000009904: 7FDAB3EF
	buffer_atomic_add_f32 v117, v8, s[32:35], 0 offen offset:128// 000000009908: E1341080 80087508
	v_mfma_f32_16x16x16_f16 a[220:223], v[230:231], v[64:65], a[220:223]// 000000009910: D3CD80DC 077281E6
	ds_read_b64_tr_b16 v[54:55], v14 offset:35360              // 000000009918: D9C68A20 3600000E
	ds_read_b64_tr_b16 v[56:57], v14 offset:36480              // 000000009920: D9C68E80 3800000E
	ds_read_b64_tr_b16 v[58:59], v14 offset:36512              // 000000009928: D9C68EA0 3A00000E
	v_mfma_f32_16x16x16_f16 a[224:227], v[232:233], v[64:65], a[224:227]// 000000009930: D3CD80E0 078281E8
	v_permlane16_swap_b32_e32 v240, v242                       // 000000009938: 7FE0B3F2
	v_permlane16_swap_b32_e32 v241, v243                       // 00000000993C: 7FE2B3F3
	v_mfma_f32_16x16x16_f16 a[228:231], v[234:235], v[64:65], a[228:231]// 000000009940: D3CD80E4 079281EA
	ds_read_b64_tr_b16 a[48:49], v21                           // 000000009948: DBC60000 30000015
	ds_read_b64_tr_b16 a[50:51], v21 offset:256                // 000000009950: DBC60100 32000015
	ds_read_b64_tr_b16 a[52:53], v21 offset:12288              // 000000009958: DBC63000 34000015
	v_mfma_f32_16x16x16_f16 a[232:235], v[236:237], v[64:65], a[232:235]// 000000009960: D3CD80E8 07A281EC
	v_permlane16_swap_b32_e32 v244, v246                       // 000000009968: 7FE8B3F6
	v_permlane16_swap_b32_e32 v245, v247                       // 00000000996C: 7FEAB3F7
	v_mfma_f32_16x16x16_f16 a[236:239], v[238:239], v[64:65], a[236:239]// 000000009970: D3CD80EC 07B281EE
	ds_read_b64_tr_b16 a[54:55], v21 offset:12544              // 000000009978: DBC63100 36000015
	ds_read_b64_tr_b16 a[56:57], v21 offset:24576              // 000000009980: DBC66000 38000015
	ds_read_b64_tr_b16 a[58:59], v21 offset:24832              // 000000009988: DBC66100 3A000015
	v_mfma_f32_16x16x16_f16 a[240:243], v[240:241], v[64:65], a[240:243]// 000000009990: D3CD80F0 07C281F0
	v_mov_b32_dpp v105, v104 quad_perm:[1,1,1,1] row_mask:0xf bank_mask:0xf// 000000009998: 7ED202FA FF005568
	buffer_atomic_add_f32 v118, v9, s[32:35], 0 offen offset:128// 0000000099A0: E1341080 80087609
	v_mfma_f32_16x16x16_f16 a[244:247], v[242:243], v[64:65], a[244:247]// 0000000099A8: D3CD80F4 07D281F2
	ds_read_b64_tr_b16 a[60:61], v21 offset:36864              // 0000000099B0: DBC69000 3C000015
	ds_read_b64_tr_b16 a[62:63], v21 offset:37120              // 0000000099B8: DBC69100 3E000015
	ds_read_b64_tr_b16 v[248:249], v21 offset:49152            // 0000000099C0: D9C6C000 F8000015
	v_mfma_f32_16x16x16_f16 a[248:251], v[244:245], v[64:65], a[248:251]// 0000000099C8: D3CD80F8 07E281F4
	v_mov_b32_dpp v104, v104 quad_perm:[0,0,0,0] row_mask:0xf bank_mask:0xf// 0000000099D0: 7ED002FA FF000068
	buffer_atomic_add_f32 v119, v10, s[32:35], 0 offen offset:128// 0000000099D8: E1341080 8008770A
	v_mfma_f32_16x16x16_f16 a[252:255], v[246:247], v[64:65], a[252:255]// 0000000099E0: D3CD80FC 07F281F6
	ds_read_b64_tr_b16 v[250:251], v21 offset:49408            // 0000000099E8: D9C6C100 FA000015
	ds_read_b64_tr_b16 v[252:253], v21 offset:61440            // 0000000099F0: D9C6F000 FC000015
	ds_read_b64_tr_b16 v[254:255], v21 offset:61696            // 0000000099F8: D9C6F100 FE000015
	s_waitcnt vmcnt(12) lgkmcnt(6)                             // 000000009A00: BF8C067C
	s_barrier                                                  // 000000009A04: BF8A0000
	v_mfma_f32_16x16x32_f16 v[108:111], v[36:39], a[0:3], 0    // 000000009A08: D3D4006C 12020124
	s_mov_b32 m0, s87                                          // 000000009A10: BEFC0057
	buffer_load_dwordx4 v1, s[8:11], 0 idxen lds               // 000000009A14: E05D2000 80020001
	v_mfma_f32_16x16x32_f16 v[108:111], v[40:43], a[4:7], v[108:111]// 000000009A1C: D3D4006C 15B20928
	ds_read_b128 v[224:227], v12                               // 000000009A24: D9FE0000 E000000C
	ds_read_b128 v[228:231], v12 offset:1024                   // 000000009A2C: D9FE0400 E400000C
	v_mfma_f32_16x16x32_f16 v[108:111], v[44:47], a[8:11], v[108:111]// 000000009A34: D3D4006C 15B2112C
	s_mov_b32 m0, s88                                          // 000000009A3C: BEFC0058
	buffer_load_dword v2, s[8:11], 0 idxen lds                 // 000000009A40: E0512000 80020002
	v_mfma_f32_16x16x32_f16 v[108:111], v[48:51], a[12:15], v[108:111]// 000000009A48: D3D4006C 15B21930
	ds_read_b128 v[232:235], v12 offset:2048                   // 000000009A50: D9FE0800 E800000C
	ds_read_b128 v[236:239], v12 offset:3072                   // 000000009A58: D9FE0C00 EC00000C
	v_mfma_f32_16x16x32_f16 v[108:111], v[52:55], a[16:19], v[108:111]// 000000009A60: D3D4006C 15B22134
	s_mov_b32 m0, s89                                          // 000000009A68: BEFC0059
	buffer_load_dword v3, s[8:11], 0 idxen lds                 // 000000009A6C: E0512000 80020003
	v_mfma_f32_16x16x32_f16 v[108:111], v[56:59], a[20:23], v[108:111]// 000000009A74: D3D4006C 15B22938
	ds_read_b128 v[240:243], v12 offset:4096                   // 000000009A7C: D9FE1000 F000000C
	ds_read_b128 v[244:247], v12 offset:5120                   // 000000009A84: D9FE1400 F400000C
	v_mfma_f32_16x16x32_f16 v[112:115], v[36:39], a[24:27], 0  // 000000009A8C: D3D40070 12023124
	s_mov_b32 m0, s101                                         // 000000009A94: BEFC0065
	buffer_load_dwordx4 v4, s[20:23], 0 idxen lds              // 000000009A98: E05D2000 80050004
	v_mfma_f32_16x16x32_f16 v[112:115], v[40:43], a[28:31], v[112:115]// 000000009AA0: D3D40070 15C23928
	ds_read_b128 a[0:3], v17                                   // 000000009AA8: DBFE0000 00000011
	ds_read_b128 a[4:7], v17 offset:1024                       // 000000009AB0: DBFE0400 04000011
	v_mfma_f32_16x16x32_f16 v[112:115], v[44:47], a[32:35], v[112:115]// 000000009AB8: D3D40070 15C2412C
	v_mul_f32_e32 v108, s47, v108                              // 000000009AC0: 0AD8D82F
	v_mul_f32_e32 v109, s47, v109                              // 000000009AC4: 0ADADA2F
	s_mov_b32 m0, s80                                          // 000000009AC8: BEFC0050
	buffer_load_dword v11, s[24:27], 0 idxen lds               // 000000009ACC: E0512000 8006000B
	v_mfma_f32_16x16x32_f16 v[112:115], v[48:51], a[36:39], v[112:115]// 000000009AD4: D3D40070 15C24930
	ds_read_b128 a[8:11], v17 offset:2048                      // 000000009ADC: DBFE0800 08000011
	ds_read_b128 a[12:15], v17 offset:3072                     // 000000009AE4: DBFE0C00 0C000011
	v_mfma_f32_16x16x32_f16 v[112:115], v[52:55], a[40:43], v[112:115]// 000000009AEC: D3D40070 15C25134
	s_add_u32 s60, 64, s59                                     // 000000009AF4: 803C3BC0
	s_cmp_lt_u32 s60, s58                                      // 000000009AF8: BF0A3A3C
	s_cselect_b32 s68, s68, 0                                  // 000000009AFC: 85448044
	s_cselect_b32 s98, s98, 0                                  // 000000009B00: 85628062
	s_cselect_b32 s69, s69, 0                                  // 000000009B04: 85458045
	v_mfma_f32_16x16x32_f16 v[112:115], v[56:59], a[44:47], v[112:115]// 000000009B08: D3D40070 15C25938
	ds_read_b128 a[16:19], v17 offset:4096                     // 000000009B10: DBFE1000 10000011
	ds_read_b128 a[20:23], v17 offset:5120                     // 000000009B18: DBFE1400 14000011
	v_mfma_f32_16x16x32_f16 v[116:119], v[36:39], a[48:51], 0  // 000000009B20: D3D40074 12026124
	v_add_u32_e32 v1, s68, v1                                  // 000000009B28: 68020244
	v_add_u32_e32 v2, s68, v2                                  // 000000009B2C: 68040444
	v_add_u32_e32 v3, s68, v3                                  // 000000009B30: 68060644
	v_add_u32_e32 v4, s98, v4                                  // 000000009B34: 68080862
	v_add_u32_e32 v11, s69, v11                                // 000000009B38: 68161645
	v_mfma_f32_16x16x32_f16 v[116:119], v[40:43], a[52:55], v[116:119]// 000000009B3C: D3D40074 15D26928
	ds_read_b128 a[24:27], v17 offset:24576                    // 000000009B44: DBFE6000 18000011
	ds_read_b128 a[28:31], v17 offset:25600                    // 000000009B4C: DBFE6400 1C000011
	s_waitcnt lgkmcnt(14)                                      // 000000009B54: BF8CCE7F
	v_mfma_f32_16x16x32_f16 v[116:119], v[44:47], a[56:59], v[116:119]// 000000009B58: D3D40074 15D2712C
	v_mul_f32_e32 v110, s47, v110                              // 000000009B60: 0ADCDC2F
	v_mul_f32_e32 v111, s47, v111                              // 000000009B64: 0ADEDE2F
	s_cmp_ge_u32 s59, s73                                      // 000000009B68: BF09493B
	s_cselect_b32 s66, s67, s66                                // 000000009B6C: 85424243
	v_mfma_f32_16x16x32_f16 v[116:119], v[48:51], a[60:63], v[116:119]// 000000009B70: D3D40074 15D27930
	ds_read_b128 a[32:35], v17 offset:26624                    // 000000009B78: DBFE6800 20000011
	ds_read_b128 a[36:39], v17 offset:27648                    // 000000009B80: DBFE6C00 24000011
	v_mfma_f32_16x16x32_f16 v[116:119], v[52:55], v[248:251], v[116:119]// 000000009B88: D3D40074 05D3F134
	s_addk_i32 s59, 0x10                                       // 000000009B90: B73B0010
	v_mul_f32_e32 v112, s47, v112                              // 000000009B94: 0AE0E02F
	v_mul_f32_e32 v113, s47, v113                              // 000000009B98: 0AE2E22F
	s_cmp_lt_i32 s59, s58                                      // 000000009B9C: BF043A3B
	v_mfma_f32_16x16x32_f16 v[116:119], v[56:59], v[252:255], v[116:119]// 000000009BA0: D3D40074 05D3F938
	ds_read_b128 a[40:43], v17 offset:28672                    // 000000009BA8: DBFE7000 28000011
	ds_read_b128 a[44:47], v17 offset:29696                    // 000000009BB0: DBFE7400 2C000011
	s_cbranch_scc0 label_0E97                                  // 000000009BB8: BF84F799
	s_branch label_0E9A                                        // 000000009BBC: BF82F79B

0000000000009bc0 <label_170E>:
	v_lshlrev_b32_e32 v24, 1, v0                               // 000000009BC0: 24300081
	s_mul_i32 s60, s46, 0xcc0                                  // 000000009BC4: 923CFF2E 00000CC0
	v_add_u32_e32 v24, s60, v24                                // 000000009BCC: 6830303C
	v_lshlrev_b32_e32 v24, 2, v24                              // 000000009BD0: 24303082
	v_lshlrev_b32_e32 v25, 1, v0                               // 000000009BD4: 24320081
	v_lshrrev_b32_e32 v32, 5, v0                               // 000000009BD8: 20400085
	v_mul_i32_i24_e32 v32, 8, v32                              // 000000009BDC: 0C404088
	v_add_u32_e32 v25, v32, v25                                // 000000009BE0: 68323320
	s_mul_i32 s60, s46, 0x6c0                                  // 000000009BE4: 923CFF2E 000006C0
	v_add_u32_e32 v25, s60, v25                                // 000000009BEC: 6832323C
	v_lshlrev_b32_e32 v25, 2, v25                              // 000000009BF0: 24323282
	v_mul_f32_e32 v114, s47, v114                              // 000000009BF4: 0AE4E42F
	v_mul_f32_e32 v115, s47, v115                              // 000000009BF8: 0AE6E62F
	v_mul_f32_e32 v116, s47, v116                              // 000000009BFC: 0AE8E82F
	v_mul_f32_e32 v117, s47, v117                              // 000000009C00: 0AEAEA2F
	v_mul_f32_e32 v118, s47, v118                              // 000000009C04: 0AECEC2F
	v_mul_f32_e32 v119, s47, v119                              // 000000009C08: 0AEEEE2F
	v_add_u32_e32 v7, s66, v7                                  // 000000009C0C: 680E0E42
	v_add_u32_e32 v8, s66, v8                                  // 000000009C10: 68101042
	v_add_u32_e32 v9, s66, v9                                  // 000000009C14: 68121242
	v_add_u32_e32 v10, s66, v10                                // 000000009C18: 68141442
	buffer_atomic_add_f32 v108, v7, s[32:35], 0 offen          // 000000009C1C: E1341000 80086C07
	buffer_atomic_add_f32 v109, v8, s[32:35], 0 offen          // 000000009C24: E1341000 80086D08
	buffer_atomic_add_f32 v110, v9, s[32:35], 0 offen          // 000000009C2C: E1341000 80086E09
	buffer_atomic_add_f32 v111, v10, s[32:35], 0 offen         // 000000009C34: E1341000 80086F0A
	buffer_atomic_add_f32 v112, v7, s[32:35], 0 offen offset:64// 000000009C3C: E1341040 80087007
	buffer_atomic_add_f32 v113, v8, s[32:35], 0 offen offset:64// 000000009C44: E1341040 80087108
	buffer_atomic_add_f32 v114, v9, s[32:35], 0 offen offset:64// 000000009C4C: E1341040 80087209
	buffer_atomic_add_f32 v115, v10, s[32:35], 0 offen offset:64// 000000009C54: E1341040 8008730A
	buffer_atomic_add_f32 v116, v7, s[32:35], 0 offen offset:128// 000000009C5C: E1341080 80087407
	buffer_atomic_add_f32 v117, v8, s[32:35], 0 offen offset:128// 000000009C64: E1341080 80087508
	buffer_atomic_add_f32 v118, v9, s[32:35], 0 offen offset:128// 000000009C6C: E1341080 80087609
	buffer_atomic_add_f32 v119, v10, s[32:35], 0 offen offset:128// 000000009C74: E1341080 8008770A
	v_lshrrev_b32_e32 v32, 3, v0                               // 000000009C7C: 20400083
	v_mul_i32_i24_e32 v22, 2, v32                              // 000000009C80: 0C2C4082
	v_and_b32_e32 v32, 7, v0                                   // 000000009C84: 26400087
	v_mul_i32_i24_e32 v33, 0x88, v32                           // 000000009C88: 0C4240FF 00000088
	v_add_u32_e32 v22, v33, v22                                // 000000009C90: 682C2D21
	s_mul_i32 s60, s46, 0xcc0                                  // 000000009C94: 923CFF2E 00000CC0
	v_add_u32_e32 v22, s60, v22                                // 000000009C9C: 682C2C3C
	v_lshlrev_b32_e32 v22, 2, v22                              // 000000009CA0: 242C2C82
	v_lshrrev_b32_e32 v32, 3, v0                               // 000000009CA4: 20400083
	v_mul_i32_i24_e32 v23, 2, v32                              // 000000009CA8: 0C2E4082
	v_and_b32_e32 v32, 7, v0                                   // 000000009CAC: 26400087
	v_mul_i32_i24_e32 v33, 0x48, v32                           // 000000009CB0: 0C4240FF 00000048
	v_add_u32_e32 v23, v33, v23                                // 000000009CB8: 682E2F21
	s_mul_i32 s60, s46, 0x6c0                                  // 000000009CBC: 923CFF2E 000006C0
	v_add_u32_e32 v23, s60, v23                                // 000000009CC4: 682E2E3C
	v_lshlrev_b32_e32 v23, 2, v23                              // 000000009CC8: 242E2E82
	s_waitcnt vmcnt(0) expcnt(0) lgkmcnt(0)                    // 000000009CCC: BF8C0000
	s_barrier                                                  // 000000009CD0: BF8A0000
	v_mov_b32_e32 v34, v128                                    // 000000009CD4: 7E440380
	v_mov_b32_e32 v35, v129                                    // 000000009CD8: 7E460381
	v_cvt_pk_f16_f32 v128, v34, v35                            // 000000009CDC: D2670080 00024722
	v_mov_b32_e32 v34, v130                                    // 000000009CE4: 7E440382
	v_mov_b32_e32 v35, v131                                    // 000000009CE8: 7E460383
	v_cvt_pk_f16_f32 v129, v34, v35                            // 000000009CEC: D2670081 00024722
	v_mov_b32_e32 v34, v132                                    // 000000009CF4: 7E440384
	v_mov_b32_e32 v35, v133                                    // 000000009CF8: 7E460385
	v_cvt_pk_f16_f32 v130, v34, v35                            // 000000009CFC: D2670082 00024722
	v_mov_b32_e32 v34, v134                                    // 000000009D04: 7E440386
	v_mov_b32_e32 v35, v135                                    // 000000009D08: 7E460387
	v_cvt_pk_f16_f32 v131, v34, v35                            // 000000009D0C: D2670083 00024722
	v_mov_b32_e32 v34, v136                                    // 000000009D14: 7E440388
	v_mov_b32_e32 v35, v137                                    // 000000009D18: 7E460389
	v_cvt_pk_f16_f32 v132, v34, v35                            // 000000009D1C: D2670084 00024722
	v_mov_b32_e32 v34, v138                                    // 000000009D24: 7E44038A
	v_mov_b32_e32 v35, v139                                    // 000000009D28: 7E46038B
	v_cvt_pk_f16_f32 v133, v34, v35                            // 000000009D2C: D2670085 00024722
	v_mov_b32_e32 v34, v140                                    // 000000009D34: 7E44038C
	v_mov_b32_e32 v35, v141                                    // 000000009D38: 7E46038D
	v_cvt_pk_f16_f32 v134, v34, v35                            // 000000009D3C: D2670086 00024722
	v_mov_b32_e32 v34, v142                                    // 000000009D44: 7E44038E
	v_mov_b32_e32 v35, v143                                    // 000000009D48: 7E46038F
	v_cvt_pk_f16_f32 v135, v34, v35                            // 000000009D4C: D2670087 00024722
	v_mov_b32_e32 v34, v144                                    // 000000009D54: 7E440390
	v_mov_b32_e32 v35, v145                                    // 000000009D58: 7E460391
	v_cvt_pk_f16_f32 v136, v34, v35                            // 000000009D5C: D2670088 00024722
	v_mov_b32_e32 v34, v146                                    // 000000009D64: 7E440392
	v_mov_b32_e32 v35, v147                                    // 000000009D68: 7E460393
	v_cvt_pk_f16_f32 v137, v34, v35                            // 000000009D6C: D2670089 00024722
	v_mov_b32_e32 v34, v148                                    // 000000009D74: 7E440394
	v_mov_b32_e32 v35, v149                                    // 000000009D78: 7E460395
	v_cvt_pk_f16_f32 v138, v34, v35                            // 000000009D7C: D267008A 00024722
	v_mov_b32_e32 v34, v150                                    // 000000009D84: 7E440396
	v_mov_b32_e32 v35, v151                                    // 000000009D88: 7E460397
	v_cvt_pk_f16_f32 v139, v34, v35                            // 000000009D8C: D267008B 00024722
	v_mov_b32_e32 v34, v152                                    // 000000009D94: 7E440398
	v_mov_b32_e32 v35, v153                                    // 000000009D98: 7E460399
	v_cvt_pk_f16_f32 v140, v34, v35                            // 000000009D9C: D267008C 00024722
	v_mov_b32_e32 v34, v154                                    // 000000009DA4: 7E44039A
	v_mov_b32_e32 v35, v155                                    // 000000009DA8: 7E46039B
	v_cvt_pk_f16_f32 v141, v34, v35                            // 000000009DAC: D267008D 00024722
	v_mov_b32_e32 v34, v156                                    // 000000009DB4: 7E44039C
	v_mov_b32_e32 v35, v157                                    // 000000009DB8: 7E46039D
	v_cvt_pk_f16_f32 v142, v34, v35                            // 000000009DBC: D267008E 00024722
	v_mov_b32_e32 v34, v158                                    // 000000009DC4: 7E44039E
	v_mov_b32_e32 v35, v159                                    // 000000009DC8: 7E46039F
	v_cvt_pk_f16_f32 v143, v34, v35                            // 000000009DCC: D267008F 00024722
	v_mov_b32_e32 v34, v160                                    // 000000009DD4: 7E4403A0
	v_mov_b32_e32 v35, v161                                    // 000000009DD8: 7E4603A1
	v_cvt_pk_f16_f32 v144, v34, v35                            // 000000009DDC: D2670090 00024722
	v_mov_b32_e32 v34, v162                                    // 000000009DE4: 7E4403A2
	v_mov_b32_e32 v35, v163                                    // 000000009DE8: 7E4603A3
	v_cvt_pk_f16_f32 v145, v34, v35                            // 000000009DEC: D2670091 00024722
	v_mov_b32_e32 v34, v164                                    // 000000009DF4: 7E4403A4
	v_mov_b32_e32 v35, v165                                    // 000000009DF8: 7E4603A5
	v_cvt_pk_f16_f32 v146, v34, v35                            // 000000009DFC: D2670092 00024722
	v_mov_b32_e32 v34, v166                                    // 000000009E04: 7E4403A6
	v_mov_b32_e32 v35, v167                                    // 000000009E08: 7E4603A7
	v_cvt_pk_f16_f32 v147, v34, v35                            // 000000009E0C: D2670093 00024722
	v_mov_b32_e32 v34, v168                                    // 000000009E14: 7E4403A8
	v_mov_b32_e32 v35, v169                                    // 000000009E18: 7E4603A9
	v_cvt_pk_f16_f32 v148, v34, v35                            // 000000009E1C: D2670094 00024722
	v_mov_b32_e32 v34, v170                                    // 000000009E24: 7E4403AA
	v_mov_b32_e32 v35, v171                                    // 000000009E28: 7E4603AB
	v_cvt_pk_f16_f32 v149, v34, v35                            // 000000009E2C: D2670095 00024722
	v_mov_b32_e32 v34, v172                                    // 000000009E34: 7E4403AC
	v_mov_b32_e32 v35, v173                                    // 000000009E38: 7E4603AD
	v_cvt_pk_f16_f32 v150, v34, v35                            // 000000009E3C: D2670096 00024722
	v_mov_b32_e32 v34, v174                                    // 000000009E44: 7E4403AE
	v_mov_b32_e32 v35, v175                                    // 000000009E48: 7E4603AF
	v_cvt_pk_f16_f32 v151, v34, v35                            // 000000009E4C: D2670097 00024722
	v_mov_b32_e32 v34, v176                                    // 000000009E54: 7E4403B0
	v_mov_b32_e32 v35, v177                                    // 000000009E58: 7E4603B1
	v_cvt_pk_f16_f32 v152, v34, v35                            // 000000009E5C: D2670098 00024722
	v_mov_b32_e32 v34, v178                                    // 000000009E64: 7E4403B2
	v_mov_b32_e32 v35, v179                                    // 000000009E68: 7E4603B3
	v_cvt_pk_f16_f32 v153, v34, v35                            // 000000009E6C: D2670099 00024722
	v_mov_b32_e32 v34, v180                                    // 000000009E74: 7E4403B4
	v_mov_b32_e32 v35, v181                                    // 000000009E78: 7E4603B5
	v_cvt_pk_f16_f32 v154, v34, v35                            // 000000009E7C: D267009A 00024722
	v_mov_b32_e32 v34, v182                                    // 000000009E84: 7E4403B6
	v_mov_b32_e32 v35, v183                                    // 000000009E88: 7E4603B7
	v_cvt_pk_f16_f32 v155, v34, v35                            // 000000009E8C: D267009B 00024722
	v_mov_b32_e32 v34, v184                                    // 000000009E94: 7E4403B8
	v_mov_b32_e32 v35, v185                                    // 000000009E98: 7E4603B9
	v_cvt_pk_f16_f32 v156, v34, v35                            // 000000009E9C: D267009C 00024722
	v_mov_b32_e32 v34, v186                                    // 000000009EA4: 7E4403BA
	v_mov_b32_e32 v35, v187                                    // 000000009EA8: 7E4603BB
	v_cvt_pk_f16_f32 v157, v34, v35                            // 000000009EAC: D267009D 00024722
	v_mov_b32_e32 v34, v188                                    // 000000009EB4: 7E4403BC
	v_mov_b32_e32 v35, v189                                    // 000000009EB8: 7E4603BD
	v_cvt_pk_f16_f32 v158, v34, v35                            // 000000009EBC: D267009E 00024722
	v_mov_b32_e32 v34, v190                                    // 000000009EC4: 7E4403BE
	v_mov_b32_e32 v35, v191                                    // 000000009EC8: 7E4603BF
	v_cvt_pk_f16_f32 v159, v34, v35                            // 000000009ECC: D267009F 00024722
	ds_write_b64 v24, v[128:129]                               // 000000009ED4: D89A0000 00008018
	ds_write_b64 v24, v[130:131] offset:544                    // 000000009EDC: D89A0220 00008218
	ds_write_b64 v24, v[132:133] offset:1088                   // 000000009EE4: D89A0440 00008418
	ds_write_b64 v24, v[134:135] offset:1632                   // 000000009EEC: D89A0660 00008618
	ds_write_b64 v24, v[136:137] offset:2176                   // 000000009EF4: D89A0880 00008818
	ds_write_b64 v24, v[138:139] offset:2720                   // 000000009EFC: D89A0AA0 00008A18
	ds_write_b64 v24, v[140:141] offset:3264                   // 000000009F04: D89A0CC0 00008C18
	ds_write_b64 v24, v[142:143] offset:3808                   // 000000009F0C: D89A0EE0 00008E18
	ds_write_b64 v24, v[144:145] offset:4352                   // 000000009F14: D89A1100 00009018
	ds_write_b64 v24, v[146:147] offset:4896                   // 000000009F1C: D89A1320 00009218
	ds_write_b64 v24, v[148:149] offset:5440                   // 000000009F24: D89A1540 00009418
	ds_write_b64 v24, v[150:151] offset:5984                   // 000000009F2C: D89A1760 00009618
	ds_write_b64 v24, v[152:153] offset:6528                   // 000000009F34: D89A1980 00009818
	ds_write_b64 v24, v[154:155] offset:7072                   // 000000009F3C: D89A1BA0 00009A18
	ds_write_b64 v24, v[156:157] offset:7616                   // 000000009F44: D89A1DC0 00009C18
	ds_write_b64 v24, v[158:159] offset:8160                   // 000000009F4C: D89A1FE0 00009E18
	s_waitcnt lgkmcnt(0)                                       // 000000009F54: BF8CC07F
	s_barrier                                                  // 000000009F58: BF8A0000
	ds_read_b64 v[128:129], v22                                // 000000009F5C: D8EC0000 80000016
	ds_read_b64 v[130:131], v22 offset:256                     // 000000009F64: D8EC0100 82000016
	ds_read_b64 v[132:133], v22 offset:4352                    // 000000009F6C: D8EC1100 84000016
	ds_read_b64 v[134:135], v22 offset:4608                    // 000000009F74: D8EC1200 86000016
	ds_read_b64 v[136:137], v22 offset:64                      // 000000009F7C: D8EC0040 88000016
	ds_read_b64 v[138:139], v22 offset:320                     // 000000009F84: D8EC0140 8A000016
	ds_read_b64 v[140:141], v22 offset:4416                    // 000000009F8C: D8EC1140 8C000016
	ds_read_b64 v[142:143], v22 offset:4672                    // 000000009F94: D8EC1240 8E000016
	ds_read_b64 v[144:145], v22 offset:128                     // 000000009F9C: D8EC0080 90000016
	ds_read_b64 v[146:147], v22 offset:384                     // 000000009FA4: D8EC0180 92000016
	ds_read_b64 v[148:149], v22 offset:4480                    // 000000009FAC: D8EC1180 94000016
	ds_read_b64 v[150:151], v22 offset:4736                    // 000000009FB4: D8EC1280 96000016
	ds_read_b64 v[152:153], v22 offset:192                     // 000000009FBC: D8EC00C0 98000016
	ds_read_b64 v[154:155], v22 offset:448                     // 000000009FC4: D8EC01C0 9A000016
	ds_read_b64 v[156:157], v22 offset:4544                    // 000000009FCC: D8EC11C0 9C000016
	ds_read_b64 v[158:159], v22 offset:4800                    // 000000009FD4: D8EC12C0 9E000016
	s_waitcnt lgkmcnt(0)                                       // 000000009FDC: BF8CC07F
	s_mov_b32 s70, s53                                         // 000000009FE0: BEC60035
	buffer_store_dwordx4 v[128:131], v6, s[40:43], 0 offen     // 000000009FE4: E07C1000 800A8006
	buffer_store_dwordx4 v[132:135], v6, s[40:43], 0 offen offset:128// 000000009FEC: E07C1080 800A8406
	s_mul_i32 s60, 8, s70                                      // 000000009FF4: 923C4688
	v_add_u32_e32 v6, s60, v6                                  // 000000009FF8: 680C0C3C
	buffer_store_dwordx4 v[136:139], v6, s[40:43], 0 offen     // 000000009FFC: E07C1000 800A8806
	buffer_store_dwordx4 v[140:143], v6, s[40:43], 0 offen offset:128// 00000000A004: E07C1080 800A8C06
	s_mul_i32 s60, 8, s70                                      // 00000000A00C: 923C4688
	v_add_u32_e32 v6, s60, v6                                  // 00000000A010: 680C0C3C
	s_mul_i32 s60, 48, s70                                     // 00000000A014: 923C46B0
	v_add_u32_e32 v6, s60, v6                                  // 00000000A018: 680C0C3C
	buffer_store_dwordx4 v[144:147], v6, s[40:43], 0 offen     // 00000000A01C: E07C1000 800A9006
	buffer_store_dwordx4 v[148:151], v6, s[40:43], 0 offen offset:128// 00000000A024: E07C1080 800A9406
	s_mul_i32 s60, 8, s70                                      // 00000000A02C: 923C4688
	v_add_u32_e32 v6, s60, v6                                  // 00000000A030: 680C0C3C
	buffer_store_dwordx4 v[152:155], v6, s[40:43], 0 offen     // 00000000A034: E07C1000 800A9806
	buffer_store_dwordx4 v[156:159], v6, s[40:43], 0 offen offset:128// 00000000A03C: E07C1080 800A9C06
	s_mul_i32 s60, 8, s70                                      // 00000000A044: 923C4688
	v_add_u32_e32 v6, s60, v6                                  // 00000000A048: 680C0C3C
	s_mul_i32 s60, 48, s70                                     // 00000000A04C: 923C46B0
	v_add_u32_e32 v6, s60, v6                                  // 00000000A050: 680C0C3C
	s_barrier                                                  // 00000000A054: BF8A0000
	s_cmp_ge_i32 2, s72                                        // 00000000A058: BF034882
	s_cbranch_scc1 label_18A7                                  // 00000000A05C: BF850071
	v_mov_b32_e32 v34, v192                                    // 00000000A060: 7E4403C0
	v_mov_b32_e32 v35, v193                                    // 00000000A064: 7E4603C1
	v_cvt_pk_f16_f32 v160, v34, v35                            // 00000000A068: D26700A0 00024722
	v_mov_b32_e32 v34, v194                                    // 00000000A070: 7E4403C2
	v_mov_b32_e32 v35, v195                                    // 00000000A074: 7E4603C3
	v_cvt_pk_f16_f32 v161, v34, v35                            // 00000000A078: D26700A1 00024722
	v_mov_b32_e32 v34, v196                                    // 00000000A080: 7E4403C4
	v_mov_b32_e32 v35, v197                                    // 00000000A084: 7E4603C5
	v_cvt_pk_f16_f32 v162, v34, v35                            // 00000000A088: D26700A2 00024722
	v_mov_b32_e32 v34, v198                                    // 00000000A090: 7E4403C6
	v_mov_b32_e32 v35, v199                                    // 00000000A094: 7E4603C7
	v_cvt_pk_f16_f32 v163, v34, v35                            // 00000000A098: D26700A3 00024722
	v_mov_b32_e32 v34, v200                                    // 00000000A0A0: 7E4403C8
	v_mov_b32_e32 v35, v201                                    // 00000000A0A4: 7E4603C9
	v_cvt_pk_f16_f32 v164, v34, v35                            // 00000000A0A8: D26700A4 00024722
	v_mov_b32_e32 v34, v202                                    // 00000000A0B0: 7E4403CA
	v_mov_b32_e32 v35, v203                                    // 00000000A0B4: 7E4603CB
	v_cvt_pk_f16_f32 v165, v34, v35                            // 00000000A0B8: D26700A5 00024722
	v_mov_b32_e32 v34, v204                                    // 00000000A0C0: 7E4403CC
	v_mov_b32_e32 v35, v205                                    // 00000000A0C4: 7E4603CD
	v_cvt_pk_f16_f32 v166, v34, v35                            // 00000000A0C8: D26700A6 00024722
	v_mov_b32_e32 v34, v206                                    // 00000000A0D0: 7E4403CE
	v_mov_b32_e32 v35, v207                                    // 00000000A0D4: 7E4603CF
	v_cvt_pk_f16_f32 v167, v34, v35                            // 00000000A0D8: D26700A7 00024722
	v_mov_b32_e32 v34, v208                                    // 00000000A0E0: 7E4403D0
	v_mov_b32_e32 v35, v209                                    // 00000000A0E4: 7E4603D1
	v_cvt_pk_f16_f32 v168, v34, v35                            // 00000000A0E8: D26700A8 00024722
	v_mov_b32_e32 v34, v210                                    // 00000000A0F0: 7E4403D2
	v_mov_b32_e32 v35, v211                                    // 00000000A0F4: 7E4603D3
	v_cvt_pk_f16_f32 v169, v34, v35                            // 00000000A0F8: D26700A9 00024722
	v_mov_b32_e32 v34, v212                                    // 00000000A100: 7E4403D4
	v_mov_b32_e32 v35, v213                                    // 00000000A104: 7E4603D5
	v_cvt_pk_f16_f32 v170, v34, v35                            // 00000000A108: D26700AA 00024722
	v_mov_b32_e32 v34, v214                                    // 00000000A110: 7E4403D6
	v_mov_b32_e32 v35, v215                                    // 00000000A114: 7E4603D7
	v_cvt_pk_f16_f32 v171, v34, v35                            // 00000000A118: D26700AB 00024722
	v_mov_b32_e32 v34, v216                                    // 00000000A120: 7E4403D8
	v_mov_b32_e32 v35, v217                                    // 00000000A124: 7E4603D9
	v_cvt_pk_f16_f32 v172, v34, v35                            // 00000000A128: D26700AC 00024722
	v_mov_b32_e32 v34, v218                                    // 00000000A130: 7E4403DA
	v_mov_b32_e32 v35, v219                                    // 00000000A134: 7E4603DB
	v_cvt_pk_f16_f32 v173, v34, v35                            // 00000000A138: D26700AD 00024722
	v_mov_b32_e32 v34, v220                                    // 00000000A140: 7E4403DC
	v_mov_b32_e32 v35, v221                                    // 00000000A144: 7E4603DD
	v_cvt_pk_f16_f32 v174, v34, v35                            // 00000000A148: D26700AE 00024722
	v_mov_b32_e32 v34, v222                                    // 00000000A150: 7E4403DE
	v_mov_b32_e32 v35, v223                                    // 00000000A154: 7E4603DF
	v_cvt_pk_f16_f32 v175, v34, v35                            // 00000000A158: D26700AF 00024722
	ds_write_b64 v25, v[160:161] offset:52224                  // 00000000A160: D89ACC00 0000A019
	ds_write_b64 v25, v[162:163] offset:52800                  // 00000000A168: D89ACE40 0000A219
	ds_write_b64 v25, v[164:165] offset:53376                  // 00000000A170: D89AD080 0000A419
	ds_write_b64 v25, v[166:167] offset:53952                  // 00000000A178: D89AD2C0 0000A619
	ds_write_b64 v25, v[168:169] offset:54528                  // 00000000A180: D89AD500 0000A819
	ds_write_b64 v25, v[170:171] offset:55104                  // 00000000A188: D89AD740 0000AA19
	ds_write_b64 v25, v[172:173] offset:55680                  // 00000000A190: D89AD980 0000AC19
	ds_write_b64 v25, v[174:175] offset:56256                  // 00000000A198: D89ADBC0 0000AE19
	s_waitcnt lgkmcnt(0)                                       // 00000000A1A0: BF8CC07F
	s_barrier                                                  // 00000000A1A4: BF8A0000
	ds_read_b64 v[160:161], v23 offset:52224                   // 00000000A1A8: D8ECCC00 A0000017
	ds_read_b64 v[162:163], v23 offset:52352                   // 00000000A1B0: D8ECCC80 A2000017
	ds_read_b64 v[164:165], v23 offset:54528                   // 00000000A1B8: D8ECD500 A4000017
	ds_read_b64 v[166:167], v23 offset:54656                   // 00000000A1C0: D8ECD580 A6000017
	ds_read_b64 v[168:169], v23 offset:52288                   // 00000000A1C8: D8ECCC40 A8000017
	ds_read_b64 v[170:171], v23 offset:52416                   // 00000000A1D0: D8ECCCC0 AA000017
	ds_read_b64 v[172:173], v23 offset:54592                   // 00000000A1D8: D8ECD540 AC000017
	ds_read_b64 v[174:175], v23 offset:54720                   // 00000000A1E0: D8ECD5C0 AE000017
	s_waitcnt lgkmcnt(0)                                       // 00000000A1E8: BF8CC07F
	s_mov_b32 s70, s53                                         // 00000000A1EC: BEC60035
	buffer_store_dwordx4 v[160:163], v6, s[40:43], 0 offen     // 00000000A1F0: E07C1000 800AA006
	buffer_store_dwordx4 v[164:167], v6, s[40:43], 0 offen offset:128// 00000000A1F8: E07C1080 800AA406
	s_mul_i32 s60, 8, s70                                      // 00000000A200: 923C4688
	v_add_u32_e32 v6, s60, v6                                  // 00000000A204: 680C0C3C
	buffer_store_dwordx4 v[168:171], v6, s[40:43], 0 offen     // 00000000A208: E07C1000 800AA806
	buffer_store_dwordx4 v[172:175], v6, s[40:43], 0 offen offset:128// 00000000A210: E07C1080 800AAC06
	s_mul_i32 s60, 8, s70                                      // 00000000A218: 923C4688
	v_add_u32_e32 v6, s60, v6                                  // 00000000A21C: 680C0C3C
	s_barrier                                                  // 00000000A220: BF8A0000

000000000000a224 <label_18A7>:
	v_accvgpr_read_b32 v34, a112                               // 00000000A224: D3D84022 18000170
	v_accvgpr_read_b32 v35, a113                               // 00000000A22C: D3D84023 18000171
	v_mul_f32_e32 v34, s47, v34                                // 00000000A234: 0A44442F
	v_mul_f32_e32 v35, s47, v35                                // 00000000A238: 0A46462F
	v_cvt_pk_f16_f32 v128, v34, v35                            // 00000000A23C: D2670080 00024722
	v_accvgpr_read_b32 v34, a114                               // 00000000A244: D3D84022 18000172
	v_accvgpr_read_b32 v35, a115                               // 00000000A24C: D3D84023 18000173
	v_mul_f32_e32 v34, s47, v34                                // 00000000A254: 0A44442F
	v_mul_f32_e32 v35, s47, v35                                // 00000000A258: 0A46462F
	v_cvt_pk_f16_f32 v129, v34, v35                            // 00000000A25C: D2670081 00024722
	v_accvgpr_read_b32 v34, a116                               // 00000000A264: D3D84022 18000174
	v_accvgpr_read_b32 v35, a117                               // 00000000A26C: D3D84023 18000175
	v_mul_f32_e32 v34, s47, v34                                // 00000000A274: 0A44442F
	v_mul_f32_e32 v35, s47, v35                                // 00000000A278: 0A46462F
	v_cvt_pk_f16_f32 v130, v34, v35                            // 00000000A27C: D2670082 00024722
	v_accvgpr_read_b32 v34, a118                               // 00000000A284: D3D84022 18000176
	v_accvgpr_read_b32 v35, a119                               // 00000000A28C: D3D84023 18000177
	v_mul_f32_e32 v34, s47, v34                                // 00000000A294: 0A44442F
	v_mul_f32_e32 v35, s47, v35                                // 00000000A298: 0A46462F
	v_cvt_pk_f16_f32 v131, v34, v35                            // 00000000A29C: D2670083 00024722
	v_accvgpr_read_b32 v34, a120                               // 00000000A2A4: D3D84022 18000178
	v_accvgpr_read_b32 v35, a121                               // 00000000A2AC: D3D84023 18000179
	v_mul_f32_e32 v34, s47, v34                                // 00000000A2B4: 0A44442F
	v_mul_f32_e32 v35, s47, v35                                // 00000000A2B8: 0A46462F
	v_cvt_pk_f16_f32 v132, v34, v35                            // 00000000A2BC: D2670084 00024722
	v_accvgpr_read_b32 v34, a122                               // 00000000A2C4: D3D84022 1800017A
	v_accvgpr_read_b32 v35, a123                               // 00000000A2CC: D3D84023 1800017B
	v_mul_f32_e32 v34, s47, v34                                // 00000000A2D4: 0A44442F
	v_mul_f32_e32 v35, s47, v35                                // 00000000A2D8: 0A46462F
	v_cvt_pk_f16_f32 v133, v34, v35                            // 00000000A2DC: D2670085 00024722
	v_accvgpr_read_b32 v34, a124                               // 00000000A2E4: D3D84022 1800017C
	v_accvgpr_read_b32 v35, a125                               // 00000000A2EC: D3D84023 1800017D
	v_mul_f32_e32 v34, s47, v34                                // 00000000A2F4: 0A44442F
	v_mul_f32_e32 v35, s47, v35                                // 00000000A2F8: 0A46462F
	v_cvt_pk_f16_f32 v134, v34, v35                            // 00000000A2FC: D2670086 00024722
	v_accvgpr_read_b32 v34, a126                               // 00000000A304: D3D84022 1800017E
	v_accvgpr_read_b32 v35, a127                               // 00000000A30C: D3D84023 1800017F
	v_mul_f32_e32 v34, s47, v34                                // 00000000A314: 0A44442F
	v_mul_f32_e32 v35, s47, v35                                // 00000000A318: 0A46462F
	v_cvt_pk_f16_f32 v135, v34, v35                            // 00000000A31C: D2670087 00024722
	v_accvgpr_read_b32 v34, a128                               // 00000000A324: D3D84022 18000180
	v_accvgpr_read_b32 v35, a129                               // 00000000A32C: D3D84023 18000181
	v_mul_f32_e32 v34, s47, v34                                // 00000000A334: 0A44442F
	v_mul_f32_e32 v35, s47, v35                                // 00000000A338: 0A46462F
	v_cvt_pk_f16_f32 v136, v34, v35                            // 00000000A33C: D2670088 00024722
	v_accvgpr_read_b32 v34, a130                               // 00000000A344: D3D84022 18000182
	v_accvgpr_read_b32 v35, a131                               // 00000000A34C: D3D84023 18000183
	v_mul_f32_e32 v34, s47, v34                                // 00000000A354: 0A44442F
	v_mul_f32_e32 v35, s47, v35                                // 00000000A358: 0A46462F
	v_cvt_pk_f16_f32 v137, v34, v35                            // 00000000A35C: D2670089 00024722
	v_accvgpr_read_b32 v34, a132                               // 00000000A364: D3D84022 18000184
	v_accvgpr_read_b32 v35, a133                               // 00000000A36C: D3D84023 18000185
	v_mul_f32_e32 v34, s47, v34                                // 00000000A374: 0A44442F
	v_mul_f32_e32 v35, s47, v35                                // 00000000A378: 0A46462F
	v_cvt_pk_f16_f32 v138, v34, v35                            // 00000000A37C: D267008A 00024722
	v_accvgpr_read_b32 v34, a134                               // 00000000A384: D3D84022 18000186
	v_accvgpr_read_b32 v35, a135                               // 00000000A38C: D3D84023 18000187
	v_mul_f32_e32 v34, s47, v34                                // 00000000A394: 0A44442F
	v_mul_f32_e32 v35, s47, v35                                // 00000000A398: 0A46462F
	v_cvt_pk_f16_f32 v139, v34, v35                            // 00000000A39C: D267008B 00024722
	v_accvgpr_read_b32 v34, a136                               // 00000000A3A4: D3D84022 18000188
	v_accvgpr_read_b32 v35, a137                               // 00000000A3AC: D3D84023 18000189
	v_mul_f32_e32 v34, s47, v34                                // 00000000A3B4: 0A44442F
	v_mul_f32_e32 v35, s47, v35                                // 00000000A3B8: 0A46462F
	v_cvt_pk_f16_f32 v140, v34, v35                            // 00000000A3BC: D267008C 00024722
	v_accvgpr_read_b32 v34, a138                               // 00000000A3C4: D3D84022 1800018A
	v_accvgpr_read_b32 v35, a139                               // 00000000A3CC: D3D84023 1800018B
	v_mul_f32_e32 v34, s47, v34                                // 00000000A3D4: 0A44442F
	v_mul_f32_e32 v35, s47, v35                                // 00000000A3D8: 0A46462F
	v_cvt_pk_f16_f32 v141, v34, v35                            // 00000000A3DC: D267008D 00024722
	v_accvgpr_read_b32 v34, a140                               // 00000000A3E4: D3D84022 1800018C
	v_accvgpr_read_b32 v35, a141                               // 00000000A3EC: D3D84023 1800018D
	v_mul_f32_e32 v34, s47, v34                                // 00000000A3F4: 0A44442F
	v_mul_f32_e32 v35, s47, v35                                // 00000000A3F8: 0A46462F
	v_cvt_pk_f16_f32 v142, v34, v35                            // 00000000A3FC: D267008E 00024722
	v_accvgpr_read_b32 v34, a142                               // 00000000A404: D3D84022 1800018E
	v_accvgpr_read_b32 v35, a143                               // 00000000A40C: D3D84023 1800018F
	v_mul_f32_e32 v34, s47, v34                                // 00000000A414: 0A44442F
	v_mul_f32_e32 v35, s47, v35                                // 00000000A418: 0A46462F
	v_cvt_pk_f16_f32 v143, v34, v35                            // 00000000A41C: D267008F 00024722
	v_accvgpr_read_b32 v34, a144                               // 00000000A424: D3D84022 18000190
	v_accvgpr_read_b32 v35, a145                               // 00000000A42C: D3D84023 18000191
	v_mul_f32_e32 v34, s47, v34                                // 00000000A434: 0A44442F
	v_mul_f32_e32 v35, s47, v35                                // 00000000A438: 0A46462F
	v_cvt_pk_f16_f32 v144, v34, v35                            // 00000000A43C: D2670090 00024722
	v_accvgpr_read_b32 v34, a146                               // 00000000A444: D3D84022 18000192
	v_accvgpr_read_b32 v35, a147                               // 00000000A44C: D3D84023 18000193
	v_mul_f32_e32 v34, s47, v34                                // 00000000A454: 0A44442F
	v_mul_f32_e32 v35, s47, v35                                // 00000000A458: 0A46462F
	v_cvt_pk_f16_f32 v145, v34, v35                            // 00000000A45C: D2670091 00024722
	v_accvgpr_read_b32 v34, a148                               // 00000000A464: D3D84022 18000194
	v_accvgpr_read_b32 v35, a149                               // 00000000A46C: D3D84023 18000195
	v_mul_f32_e32 v34, s47, v34                                // 00000000A474: 0A44442F
	v_mul_f32_e32 v35, s47, v35                                // 00000000A478: 0A46462F
	v_cvt_pk_f16_f32 v146, v34, v35                            // 00000000A47C: D2670092 00024722
	v_accvgpr_read_b32 v34, a150                               // 00000000A484: D3D84022 18000196
	v_accvgpr_read_b32 v35, a151                               // 00000000A48C: D3D84023 18000197
	v_mul_f32_e32 v34, s47, v34                                // 00000000A494: 0A44442F
	v_mul_f32_e32 v35, s47, v35                                // 00000000A498: 0A46462F
	v_cvt_pk_f16_f32 v147, v34, v35                            // 00000000A49C: D2670093 00024722
	v_accvgpr_read_b32 v34, a152                               // 00000000A4A4: D3D84022 18000198
	v_accvgpr_read_b32 v35, a153                               // 00000000A4AC: D3D84023 18000199
	v_mul_f32_e32 v34, s47, v34                                // 00000000A4B4: 0A44442F
	v_mul_f32_e32 v35, s47, v35                                // 00000000A4B8: 0A46462F
	v_cvt_pk_f16_f32 v148, v34, v35                            // 00000000A4BC: D2670094 00024722
	v_accvgpr_read_b32 v34, a154                               // 00000000A4C4: D3D84022 1800019A
	v_accvgpr_read_b32 v35, a155                               // 00000000A4CC: D3D84023 1800019B
	v_mul_f32_e32 v34, s47, v34                                // 00000000A4D4: 0A44442F
	v_mul_f32_e32 v35, s47, v35                                // 00000000A4D8: 0A46462F
	v_cvt_pk_f16_f32 v149, v34, v35                            // 00000000A4DC: D2670095 00024722
	v_accvgpr_read_b32 v34, a156                               // 00000000A4E4: D3D84022 1800019C
	v_accvgpr_read_b32 v35, a157                               // 00000000A4EC: D3D84023 1800019D
	v_mul_f32_e32 v34, s47, v34                                // 00000000A4F4: 0A44442F
	v_mul_f32_e32 v35, s47, v35                                // 00000000A4F8: 0A46462F
	v_cvt_pk_f16_f32 v150, v34, v35                            // 00000000A4FC: D2670096 00024722
	v_accvgpr_read_b32 v34, a158                               // 00000000A504: D3D84022 1800019E
	v_accvgpr_read_b32 v35, a159                               // 00000000A50C: D3D84023 1800019F
	v_mul_f32_e32 v34, s47, v34                                // 00000000A514: 0A44442F
	v_mul_f32_e32 v35, s47, v35                                // 00000000A518: 0A46462F
	v_cvt_pk_f16_f32 v151, v34, v35                            // 00000000A51C: D2670097 00024722
	v_accvgpr_read_b32 v34, a160                               // 00000000A524: D3D84022 180001A0
	v_accvgpr_read_b32 v35, a161                               // 00000000A52C: D3D84023 180001A1
	v_mul_f32_e32 v34, s47, v34                                // 00000000A534: 0A44442F
	v_mul_f32_e32 v35, s47, v35                                // 00000000A538: 0A46462F
	v_cvt_pk_f16_f32 v152, v34, v35                            // 00000000A53C: D2670098 00024722
	v_accvgpr_read_b32 v34, a162                               // 00000000A544: D3D84022 180001A2
	v_accvgpr_read_b32 v35, a163                               // 00000000A54C: D3D84023 180001A3
	v_mul_f32_e32 v34, s47, v34                                // 00000000A554: 0A44442F
	v_mul_f32_e32 v35, s47, v35                                // 00000000A558: 0A46462F
	v_cvt_pk_f16_f32 v153, v34, v35                            // 00000000A55C: D2670099 00024722
	v_accvgpr_read_b32 v34, a164                               // 00000000A564: D3D84022 180001A4
	v_accvgpr_read_b32 v35, a165                               // 00000000A56C: D3D84023 180001A5
	v_mul_f32_e32 v34, s47, v34                                // 00000000A574: 0A44442F
	v_mul_f32_e32 v35, s47, v35                                // 00000000A578: 0A46462F
	v_cvt_pk_f16_f32 v154, v34, v35                            // 00000000A57C: D267009A 00024722
	v_accvgpr_read_b32 v34, a166                               // 00000000A584: D3D84022 180001A6
	v_accvgpr_read_b32 v35, a167                               // 00000000A58C: D3D84023 180001A7
	v_mul_f32_e32 v34, s47, v34                                // 00000000A594: 0A44442F
	v_mul_f32_e32 v35, s47, v35                                // 00000000A598: 0A46462F
	v_cvt_pk_f16_f32 v155, v34, v35                            // 00000000A59C: D267009B 00024722
	v_accvgpr_read_b32 v34, a168                               // 00000000A5A4: D3D84022 180001A8
	v_accvgpr_read_b32 v35, a169                               // 00000000A5AC: D3D84023 180001A9
	v_mul_f32_e32 v34, s47, v34                                // 00000000A5B4: 0A44442F
	v_mul_f32_e32 v35, s47, v35                                // 00000000A5B8: 0A46462F
	v_cvt_pk_f16_f32 v156, v34, v35                            // 00000000A5BC: D267009C 00024722
	v_accvgpr_read_b32 v34, a170                               // 00000000A5C4: D3D84022 180001AA
	v_accvgpr_read_b32 v35, a171                               // 00000000A5CC: D3D84023 180001AB
	v_mul_f32_e32 v34, s47, v34                                // 00000000A5D4: 0A44442F
	v_mul_f32_e32 v35, s47, v35                                // 00000000A5D8: 0A46462F
	v_cvt_pk_f16_f32 v157, v34, v35                            // 00000000A5DC: D267009D 00024722
	v_accvgpr_read_b32 v34, a172                               // 00000000A5E4: D3D84022 180001AC
	v_accvgpr_read_b32 v35, a173                               // 00000000A5EC: D3D84023 180001AD
	v_mul_f32_e32 v34, s47, v34                                // 00000000A5F4: 0A44442F
	v_mul_f32_e32 v35, s47, v35                                // 00000000A5F8: 0A46462F
	v_cvt_pk_f16_f32 v158, v34, v35                            // 00000000A5FC: D267009E 00024722
	v_accvgpr_read_b32 v34, a174                               // 00000000A604: D3D84022 180001AE
	v_accvgpr_read_b32 v35, a175                               // 00000000A60C: D3D84023 180001AF
	v_mul_f32_e32 v34, s47, v34                                // 00000000A614: 0A44442F
	v_mul_f32_e32 v35, s47, v35                                // 00000000A618: 0A46462F
	v_cvt_pk_f16_f32 v159, v34, v35                            // 00000000A61C: D267009F 00024722
	v_accvgpr_read_b32 v34, a176                               // 00000000A624: D3D84022 180001B0
	v_accvgpr_read_b32 v35, a177                               // 00000000A62C: D3D84023 180001B1
	v_mul_f32_e32 v34, s47, v34                                // 00000000A634: 0A44442F
	v_mul_f32_e32 v35, s47, v35                                // 00000000A638: 0A46462F
	v_cvt_pk_f16_f32 v160, v34, v35                            // 00000000A63C: D26700A0 00024722
	v_accvgpr_read_b32 v34, a178                               // 00000000A644: D3D84022 180001B2
	v_accvgpr_read_b32 v35, a179                               // 00000000A64C: D3D84023 180001B3
	v_mul_f32_e32 v34, s47, v34                                // 00000000A654: 0A44442F
	v_mul_f32_e32 v35, s47, v35                                // 00000000A658: 0A46462F
	v_cvt_pk_f16_f32 v161, v34, v35                            // 00000000A65C: D26700A1 00024722
	v_accvgpr_read_b32 v34, a180                               // 00000000A664: D3D84022 180001B4
	v_accvgpr_read_b32 v35, a181                               // 00000000A66C: D3D84023 180001B5
	v_mul_f32_e32 v34, s47, v34                                // 00000000A674: 0A44442F
	v_mul_f32_e32 v35, s47, v35                                // 00000000A678: 0A46462F
	v_cvt_pk_f16_f32 v162, v34, v35                            // 00000000A67C: D26700A2 00024722
	v_accvgpr_read_b32 v34, a182                               // 00000000A684: D3D84022 180001B6
	v_accvgpr_read_b32 v35, a183                               // 00000000A68C: D3D84023 180001B7
	v_mul_f32_e32 v34, s47, v34                                // 00000000A694: 0A44442F
	v_mul_f32_e32 v35, s47, v35                                // 00000000A698: 0A46462F
	v_cvt_pk_f16_f32 v163, v34, v35                            // 00000000A69C: D26700A3 00024722
	v_accvgpr_read_b32 v34, a184                               // 00000000A6A4: D3D84022 180001B8
	v_accvgpr_read_b32 v35, a185                               // 00000000A6AC: D3D84023 180001B9
	v_mul_f32_e32 v34, s47, v34                                // 00000000A6B4: 0A44442F
	v_mul_f32_e32 v35, s47, v35                                // 00000000A6B8: 0A46462F
	v_cvt_pk_f16_f32 v164, v34, v35                            // 00000000A6BC: D26700A4 00024722
	v_accvgpr_read_b32 v34, a186                               // 00000000A6C4: D3D84022 180001BA
	v_accvgpr_read_b32 v35, a187                               // 00000000A6CC: D3D84023 180001BB
	v_mul_f32_e32 v34, s47, v34                                // 00000000A6D4: 0A44442F
	v_mul_f32_e32 v35, s47, v35                                // 00000000A6D8: 0A46462F
	v_cvt_pk_f16_f32 v165, v34, v35                            // 00000000A6DC: D26700A5 00024722
	v_accvgpr_read_b32 v34, a188                               // 00000000A6E4: D3D84022 180001BC
	v_accvgpr_read_b32 v35, a189                               // 00000000A6EC: D3D84023 180001BD
	v_mul_f32_e32 v34, s47, v34                                // 00000000A6F4: 0A44442F
	v_mul_f32_e32 v35, s47, v35                                // 00000000A6F8: 0A46462F
	v_cvt_pk_f16_f32 v166, v34, v35                            // 00000000A6FC: D26700A6 00024722
	v_accvgpr_read_b32 v34, a190                               // 00000000A704: D3D84022 180001BE
	v_accvgpr_read_b32 v35, a191                               // 00000000A70C: D3D84023 180001BF
	v_mul_f32_e32 v34, s47, v34                                // 00000000A714: 0A44442F
	v_mul_f32_e32 v35, s47, v35                                // 00000000A718: 0A46462F
	v_cvt_pk_f16_f32 v167, v34, v35                            // 00000000A71C: D26700A7 00024722
	v_accvgpr_read_b32 v34, a192                               // 00000000A724: D3D84022 180001C0
	v_accvgpr_read_b32 v35, a193                               // 00000000A72C: D3D84023 180001C1
	v_mul_f32_e32 v34, s47, v34                                // 00000000A734: 0A44442F
	v_mul_f32_e32 v35, s47, v35                                // 00000000A738: 0A46462F
	v_cvt_pk_f16_f32 v168, v34, v35                            // 00000000A73C: D26700A8 00024722
	v_accvgpr_read_b32 v34, a194                               // 00000000A744: D3D84022 180001C2
	v_accvgpr_read_b32 v35, a195                               // 00000000A74C: D3D84023 180001C3
	v_mul_f32_e32 v34, s47, v34                                // 00000000A754: 0A44442F
	v_mul_f32_e32 v35, s47, v35                                // 00000000A758: 0A46462F
	v_cvt_pk_f16_f32 v169, v34, v35                            // 00000000A75C: D26700A9 00024722
	v_accvgpr_read_b32 v34, a196                               // 00000000A764: D3D84022 180001C4
	v_accvgpr_read_b32 v35, a197                               // 00000000A76C: D3D84023 180001C5
	v_mul_f32_e32 v34, s47, v34                                // 00000000A774: 0A44442F
	v_mul_f32_e32 v35, s47, v35                                // 00000000A778: 0A46462F
	v_cvt_pk_f16_f32 v170, v34, v35                            // 00000000A77C: D26700AA 00024722
	v_accvgpr_read_b32 v34, a198                               // 00000000A784: D3D84022 180001C6
	v_accvgpr_read_b32 v35, a199                               // 00000000A78C: D3D84023 180001C7
	v_mul_f32_e32 v34, s47, v34                                // 00000000A794: 0A44442F
	v_mul_f32_e32 v35, s47, v35                                // 00000000A798: 0A46462F
	v_cvt_pk_f16_f32 v171, v34, v35                            // 00000000A79C: D26700AB 00024722
	v_accvgpr_read_b32 v34, a200                               // 00000000A7A4: D3D84022 180001C8
	v_accvgpr_read_b32 v35, a201                               // 00000000A7AC: D3D84023 180001C9
	v_mul_f32_e32 v34, s47, v34                                // 00000000A7B4: 0A44442F
	v_mul_f32_e32 v35, s47, v35                                // 00000000A7B8: 0A46462F
	v_cvt_pk_f16_f32 v172, v34, v35                            // 00000000A7BC: D26700AC 00024722
	v_accvgpr_read_b32 v34, a202                               // 00000000A7C4: D3D84022 180001CA
	v_accvgpr_read_b32 v35, a203                               // 00000000A7CC: D3D84023 180001CB
	v_mul_f32_e32 v34, s47, v34                                // 00000000A7D4: 0A44442F
	v_mul_f32_e32 v35, s47, v35                                // 00000000A7D8: 0A46462F
	v_cvt_pk_f16_f32 v173, v34, v35                            // 00000000A7DC: D26700AD 00024722
	v_accvgpr_read_b32 v34, a204                               // 00000000A7E4: D3D84022 180001CC
	v_accvgpr_read_b32 v35, a205                               // 00000000A7EC: D3D84023 180001CD
	v_mul_f32_e32 v34, s47, v34                                // 00000000A7F4: 0A44442F
	v_mul_f32_e32 v35, s47, v35                                // 00000000A7F8: 0A46462F
	v_cvt_pk_f16_f32 v174, v34, v35                            // 00000000A7FC: D26700AE 00024722
	v_accvgpr_read_b32 v34, a206                               // 00000000A804: D3D84022 180001CE
	v_accvgpr_read_b32 v35, a207                               // 00000000A80C: D3D84023 180001CF
	v_mul_f32_e32 v34, s47, v34                                // 00000000A814: 0A44442F
	v_mul_f32_e32 v35, s47, v35                                // 00000000A818: 0A46462F
	v_cvt_pk_f16_f32 v175, v34, v35                            // 00000000A81C: D26700AF 00024722
	ds_write_b64 v24, v[128:129]                               // 00000000A824: D89A0000 00008018
	ds_write_b64 v24, v[130:131] offset:544                    // 00000000A82C: D89A0220 00008218
	ds_write_b64 v24, v[132:133] offset:1088                   // 00000000A834: D89A0440 00008418
	ds_write_b64 v24, v[134:135] offset:1632                   // 00000000A83C: D89A0660 00008618
	ds_write_b64 v24, v[136:137] offset:2176                   // 00000000A844: D89A0880 00008818
	ds_write_b64 v24, v[138:139] offset:2720                   // 00000000A84C: D89A0AA0 00008A18
	ds_write_b64 v24, v[140:141] offset:3264                   // 00000000A854: D89A0CC0 00008C18
	ds_write_b64 v24, v[142:143] offset:3808                   // 00000000A85C: D89A0EE0 00008E18
	ds_write_b64 v24, v[144:145] offset:4352                   // 00000000A864: D89A1100 00009018
	ds_write_b64 v24, v[146:147] offset:4896                   // 00000000A86C: D89A1320 00009218
	ds_write_b64 v24, v[148:149] offset:5440                   // 00000000A874: D89A1540 00009418
	ds_write_b64 v24, v[150:151] offset:5984                   // 00000000A87C: D89A1760 00009618
	ds_write_b64 v24, v[152:153] offset:6528                   // 00000000A884: D89A1980 00009818
	ds_write_b64 v24, v[154:155] offset:7072                   // 00000000A88C: D89A1BA0 00009A18
	ds_write_b64 v24, v[156:157] offset:7616                   // 00000000A894: D89A1DC0 00009C18
	ds_write_b64 v24, v[158:159] offset:8160                   // 00000000A89C: D89A1FE0 00009E18
	ds_write_b64 v24, v[160:161] offset:8704                   // 00000000A8A4: D89A2200 0000A018
	ds_write_b64 v24, v[162:163] offset:9248                   // 00000000A8AC: D89A2420 0000A218
	ds_write_b64 v24, v[164:165] offset:9792                   // 00000000A8B4: D89A2640 0000A418
	ds_write_b64 v24, v[166:167] offset:10336                  // 00000000A8BC: D89A2860 0000A618
	ds_write_b64 v24, v[168:169] offset:10880                  // 00000000A8C4: D89A2A80 0000A818
	ds_write_b64 v24, v[170:171] offset:11424                  // 00000000A8CC: D89A2CA0 0000AA18
	ds_write_b64 v24, v[172:173] offset:11968                  // 00000000A8D4: D89A2EC0 0000AC18
	ds_write_b64 v24, v[174:175] offset:12512                  // 00000000A8DC: D89A30E0 0000AE18
	s_waitcnt lgkmcnt(0)                                       // 00000000A8E4: BF8CC07F
	s_barrier                                                  // 00000000A8E8: BF8A0000
	ds_read_b64 v[128:129], v22                                // 00000000A8EC: D8EC0000 80000016
	ds_read_b64 v[130:131], v22 offset:256                     // 00000000A8F4: D8EC0100 82000016
	ds_read_b64 v[132:133], v22 offset:4352                    // 00000000A8FC: D8EC1100 84000016
	ds_read_b64 v[134:135], v22 offset:4608                    // 00000000A904: D8EC1200 86000016
	ds_read_b64 v[136:137], v22 offset:8704                    // 00000000A90C: D8EC2200 88000016
	ds_read_b64 v[138:139], v22 offset:8960                    // 00000000A914: D8EC2300 8A000016
	ds_read_b64 v[140:141], v22 offset:64                      // 00000000A91C: D8EC0040 8C000016
	ds_read_b64 v[142:143], v22 offset:320                     // 00000000A924: D8EC0140 8E000016
	ds_read_b64 v[144:145], v22 offset:4416                    // 00000000A92C: D8EC1140 90000016
	ds_read_b64 v[146:147], v22 offset:4672                    // 00000000A934: D8EC1240 92000016
	ds_read_b64 v[148:149], v22 offset:8768                    // 00000000A93C: D8EC2240 94000016
	ds_read_b64 v[150:151], v22 offset:9024                    // 00000000A944: D8EC2340 96000016
	ds_read_b64 v[152:153], v22 offset:128                     // 00000000A94C: D8EC0080 98000016
	ds_read_b64 v[154:155], v22 offset:384                     // 00000000A954: D8EC0180 9A000016
	ds_read_b64 v[156:157], v22 offset:4480                    // 00000000A95C: D8EC1180 9C000016
	ds_read_b64 v[158:159], v22 offset:4736                    // 00000000A964: D8EC1280 9E000016
	ds_read_b64 v[160:161], v22 offset:8832                    // 00000000A96C: D8EC2280 A0000016
	ds_read_b64 v[162:163], v22 offset:9088                    // 00000000A974: D8EC2380 A2000016
	ds_read_b64 v[164:165], v22 offset:192                     // 00000000A97C: D8EC00C0 A4000016
	ds_read_b64 v[166:167], v22 offset:448                     // 00000000A984: D8EC01C0 A6000016
	ds_read_b64 v[168:169], v22 offset:4544                    // 00000000A98C: D8EC11C0 A8000016
	ds_read_b64 v[170:171], v22 offset:4800                    // 00000000A994: D8EC12C0 AA000016
	ds_read_b64 v[172:173], v22 offset:8896                    // 00000000A99C: D8EC22C0 AC000016
	ds_read_b64 v[174:175], v22 offset:9152                    // 00000000A9A4: D8EC23C0 AE000016
	s_waitcnt lgkmcnt(0)                                       // 00000000A9AC: BF8CC07F
	s_mov_b32 s70, s52                                         // 00000000A9B0: BEC60034
	buffer_store_dwordx4 v[128:131], v5, s[36:39], 0 offen     // 00000000A9B4: E07C1000 80098005
	buffer_store_dwordx4 v[132:135], v5, s[36:39], 0 offen offset:128// 00000000A9BC: E07C1080 80098405
	buffer_store_dwordx4 v[136:139], v5, s[36:39], 0 offen offset:256// 00000000A9C4: E07C1100 80098805
	s_mul_i32 s60, 8, s70                                      // 00000000A9CC: 923C4688
	v_add_u32_e32 v5, s60, v5                                  // 00000000A9D0: 680A0A3C
	buffer_store_dwordx4 v[140:143], v5, s[36:39], 0 offen     // 00000000A9D4: E07C1000 80098C05
	buffer_store_dwordx4 v[144:147], v5, s[36:39], 0 offen offset:128// 00000000A9DC: E07C1080 80099005
	buffer_store_dwordx4 v[148:151], v5, s[36:39], 0 offen offset:256// 00000000A9E4: E07C1100 80099405
	s_mul_i32 s60, 8, s70                                      // 00000000A9EC: 923C4688
	v_add_u32_e32 v5, s60, v5                                  // 00000000A9F0: 680A0A3C
	s_mul_i32 s60, 48, s70                                     // 00000000A9F4: 923C46B0
	v_add_u32_e32 v5, s60, v5                                  // 00000000A9F8: 680A0A3C
	buffer_store_dwordx4 v[152:155], v5, s[36:39], 0 offen     // 00000000A9FC: E07C1000 80099805
	buffer_store_dwordx4 v[156:159], v5, s[36:39], 0 offen offset:128// 00000000AA04: E07C1080 80099C05
	buffer_store_dwordx4 v[160:163], v5, s[36:39], 0 offen offset:256// 00000000AA0C: E07C1100 8009A005
	s_mul_i32 s60, 8, s70                                      // 00000000AA14: 923C4688
	v_add_u32_e32 v5, s60, v5                                  // 00000000AA18: 680A0A3C
	buffer_store_dwordx4 v[164:167], v5, s[36:39], 0 offen     // 00000000AA1C: E07C1000 8009A405
	buffer_store_dwordx4 v[168:171], v5, s[36:39], 0 offen offset:128// 00000000AA24: E07C1080 8009A805
	buffer_store_dwordx4 v[172:175], v5, s[36:39], 0 offen offset:256// 00000000AA2C: E07C1100 8009AC05
	s_mul_i32 s60, 8, s70                                      // 00000000AA34: 923C4688
	v_add_u32_e32 v5, s60, v5                                  // 00000000AA38: 680A0A3C
	s_mul_i32 s60, 48, s70                                     // 00000000AA3C: 923C46B0
	v_add_u32_e32 v5, s60, v5                                  // 00000000AA40: 680A0A3C
	s_cmp_ge_i32 2, s72                                        // 00000000AA44: BF034882
	s_cbranch_scc1 label_1BB5                                  // 00000000AA48: BF850104
	v_accvgpr_read_b32 v34, a208                               // 00000000AA4C: D3D84022 180001D0
	v_accvgpr_read_b32 v35, a209                               // 00000000AA54: D3D84023 180001D1
	v_mul_f32_e32 v34, s47, v34                                // 00000000AA5C: 0A44442F
	v_mul_f32_e32 v35, s47, v35                                // 00000000AA60: 0A46462F
	v_cvt_pk_f16_f32 v176, v34, v35                            // 00000000AA64: D26700B0 00024722
	v_accvgpr_read_b32 v34, a210                               // 00000000AA6C: D3D84022 180001D2
	v_accvgpr_read_b32 v35, a211                               // 00000000AA74: D3D84023 180001D3
	v_mul_f32_e32 v34, s47, v34                                // 00000000AA7C: 0A44442F
	v_mul_f32_e32 v35, s47, v35                                // 00000000AA80: 0A46462F
	v_cvt_pk_f16_f32 v177, v34, v35                            // 00000000AA84: D26700B1 00024722
	v_accvgpr_read_b32 v34, a212                               // 00000000AA8C: D3D84022 180001D4
	v_accvgpr_read_b32 v35, a213                               // 00000000AA94: D3D84023 180001D5
	v_mul_f32_e32 v34, s47, v34                                // 00000000AA9C: 0A44442F
	v_mul_f32_e32 v35, s47, v35                                // 00000000AAA0: 0A46462F
	v_cvt_pk_f16_f32 v178, v34, v35                            // 00000000AAA4: D26700B2 00024722
	v_accvgpr_read_b32 v34, a214                               // 00000000AAAC: D3D84022 180001D6
	v_accvgpr_read_b32 v35, a215                               // 00000000AAB4: D3D84023 180001D7
	v_mul_f32_e32 v34, s47, v34                                // 00000000AABC: 0A44442F
	v_mul_f32_e32 v35, s47, v35                                // 00000000AAC0: 0A46462F
	v_cvt_pk_f16_f32 v179, v34, v35                            // 00000000AAC4: D26700B3 00024722
	v_accvgpr_read_b32 v34, a216                               // 00000000AACC: D3D84022 180001D8
	v_accvgpr_read_b32 v35, a217                               // 00000000AAD4: D3D84023 180001D9
	v_mul_f32_e32 v34, s47, v34                                // 00000000AADC: 0A44442F
	v_mul_f32_e32 v35, s47, v35                                // 00000000AAE0: 0A46462F
	v_cvt_pk_f16_f32 v180, v34, v35                            // 00000000AAE4: D26700B4 00024722
	v_accvgpr_read_b32 v34, a218                               // 00000000AAEC: D3D84022 180001DA
	v_accvgpr_read_b32 v35, a219                               // 00000000AAF4: D3D84023 180001DB
	v_mul_f32_e32 v34, s47, v34                                // 00000000AAFC: 0A44442F
	v_mul_f32_e32 v35, s47, v35                                // 00000000AB00: 0A46462F
	v_cvt_pk_f16_f32 v181, v34, v35                            // 00000000AB04: D26700B5 00024722
	v_accvgpr_read_b32 v34, a220                               // 00000000AB0C: D3D84022 180001DC
	v_accvgpr_read_b32 v35, a221                               // 00000000AB14: D3D84023 180001DD
	v_mul_f32_e32 v34, s47, v34                                // 00000000AB1C: 0A44442F
	v_mul_f32_e32 v35, s47, v35                                // 00000000AB20: 0A46462F
	v_cvt_pk_f16_f32 v182, v34, v35                            // 00000000AB24: D26700B6 00024722
	v_accvgpr_read_b32 v34, a222                               // 00000000AB2C: D3D84022 180001DE
	v_accvgpr_read_b32 v35, a223                               // 00000000AB34: D3D84023 180001DF
	v_mul_f32_e32 v34, s47, v34                                // 00000000AB3C: 0A44442F
	v_mul_f32_e32 v35, s47, v35                                // 00000000AB40: 0A46462F
	v_cvt_pk_f16_f32 v183, v34, v35                            // 00000000AB44: D26700B7 00024722
	v_accvgpr_read_b32 v34, a224                               // 00000000AB4C: D3D84022 180001E0
	v_accvgpr_read_b32 v35, a225                               // 00000000AB54: D3D84023 180001E1
	v_mul_f32_e32 v34, s47, v34                                // 00000000AB5C: 0A44442F
	v_mul_f32_e32 v35, s47, v35                                // 00000000AB60: 0A46462F
	v_cvt_pk_f16_f32 v184, v34, v35                            // 00000000AB64: D26700B8 00024722
	v_accvgpr_read_b32 v34, a226                               // 00000000AB6C: D3D84022 180001E2
	v_accvgpr_read_b32 v35, a227                               // 00000000AB74: D3D84023 180001E3
	v_mul_f32_e32 v34, s47, v34                                // 00000000AB7C: 0A44442F
	v_mul_f32_e32 v35, s47, v35                                // 00000000AB80: 0A46462F
	v_cvt_pk_f16_f32 v185, v34, v35                            // 00000000AB84: D26700B9 00024722
	v_accvgpr_read_b32 v34, a228                               // 00000000AB8C: D3D84022 180001E4
	v_accvgpr_read_b32 v35, a229                               // 00000000AB94: D3D84023 180001E5
	v_mul_f32_e32 v34, s47, v34                                // 00000000AB9C: 0A44442F
	v_mul_f32_e32 v35, s47, v35                                // 00000000ABA0: 0A46462F
	v_cvt_pk_f16_f32 v186, v34, v35                            // 00000000ABA4: D26700BA 00024722
	v_accvgpr_read_b32 v34, a230                               // 00000000ABAC: D3D84022 180001E6
	v_accvgpr_read_b32 v35, a231                               // 00000000ABB4: D3D84023 180001E7
	v_mul_f32_e32 v34, s47, v34                                // 00000000ABBC: 0A44442F
	v_mul_f32_e32 v35, s47, v35                                // 00000000ABC0: 0A46462F
	v_cvt_pk_f16_f32 v187, v34, v35                            // 00000000ABC4: D26700BB 00024722
	v_accvgpr_read_b32 v34, a232                               // 00000000ABCC: D3D84022 180001E8
	v_accvgpr_read_b32 v35, a233                               // 00000000ABD4: D3D84023 180001E9
	v_mul_f32_e32 v34, s47, v34                                // 00000000ABDC: 0A44442F
	v_mul_f32_e32 v35, s47, v35                                // 00000000ABE0: 0A46462F
	v_cvt_pk_f16_f32 v188, v34, v35                            // 00000000ABE4: D26700BC 00024722
	v_accvgpr_read_b32 v34, a234                               // 00000000ABEC: D3D84022 180001EA
	v_accvgpr_read_b32 v35, a235                               // 00000000ABF4: D3D84023 180001EB
	v_mul_f32_e32 v34, s47, v34                                // 00000000ABFC: 0A44442F
	v_mul_f32_e32 v35, s47, v35                                // 00000000AC00: 0A46462F
	v_cvt_pk_f16_f32 v189, v34, v35                            // 00000000AC04: D26700BD 00024722
	v_accvgpr_read_b32 v34, a236                               // 00000000AC0C: D3D84022 180001EC
	v_accvgpr_read_b32 v35, a237                               // 00000000AC14: D3D84023 180001ED
	v_mul_f32_e32 v34, s47, v34                                // 00000000AC1C: 0A44442F
	v_mul_f32_e32 v35, s47, v35                                // 00000000AC20: 0A46462F
	v_cvt_pk_f16_f32 v190, v34, v35                            // 00000000AC24: D26700BE 00024722
	v_accvgpr_read_b32 v34, a238                               // 00000000AC2C: D3D84022 180001EE
	v_accvgpr_read_b32 v35, a239                               // 00000000AC34: D3D84023 180001EF
	v_mul_f32_e32 v34, s47, v34                                // 00000000AC3C: 0A44442F
	v_mul_f32_e32 v35, s47, v35                                // 00000000AC40: 0A46462F
	v_cvt_pk_f16_f32 v191, v34, v35                            // 00000000AC44: D26700BF 00024722
	v_accvgpr_read_b32 v34, a240                               // 00000000AC4C: D3D84022 180001F0
	v_accvgpr_read_b32 v35, a241                               // 00000000AC54: D3D84023 180001F1
	v_mul_f32_e32 v34, s47, v34                                // 00000000AC5C: 0A44442F
	v_mul_f32_e32 v35, s47, v35                                // 00000000AC60: 0A46462F
	v_cvt_pk_f16_f32 v192, v34, v35                            // 00000000AC64: D26700C0 00024722
	v_accvgpr_read_b32 v34, a242                               // 00000000AC6C: D3D84022 180001F2
	v_accvgpr_read_b32 v35, a243                               // 00000000AC74: D3D84023 180001F3
	v_mul_f32_e32 v34, s47, v34                                // 00000000AC7C: 0A44442F
	v_mul_f32_e32 v35, s47, v35                                // 00000000AC80: 0A46462F
	v_cvt_pk_f16_f32 v193, v34, v35                            // 00000000AC84: D26700C1 00024722
	v_accvgpr_read_b32 v34, a244                               // 00000000AC8C: D3D84022 180001F4
	v_accvgpr_read_b32 v35, a245                               // 00000000AC94: D3D84023 180001F5
	v_mul_f32_e32 v34, s47, v34                                // 00000000AC9C: 0A44442F
	v_mul_f32_e32 v35, s47, v35                                // 00000000ACA0: 0A46462F
	v_cvt_pk_f16_f32 v194, v34, v35                            // 00000000ACA4: D26700C2 00024722
	v_accvgpr_read_b32 v34, a246                               // 00000000ACAC: D3D84022 180001F6
	v_accvgpr_read_b32 v35, a247                               // 00000000ACB4: D3D84023 180001F7
	v_mul_f32_e32 v34, s47, v34                                // 00000000ACBC: 0A44442F
	v_mul_f32_e32 v35, s47, v35                                // 00000000ACC0: 0A46462F
	v_cvt_pk_f16_f32 v195, v34, v35                            // 00000000ACC4: D26700C3 00024722
	v_accvgpr_read_b32 v34, a248                               // 00000000ACCC: D3D84022 180001F8
	v_accvgpr_read_b32 v35, a249                               // 00000000ACD4: D3D84023 180001F9
	v_mul_f32_e32 v34, s47, v34                                // 00000000ACDC: 0A44442F
	v_mul_f32_e32 v35, s47, v35                                // 00000000ACE0: 0A46462F
	v_cvt_pk_f16_f32 v196, v34, v35                            // 00000000ACE4: D26700C4 00024722
	v_accvgpr_read_b32 v34, a250                               // 00000000ACEC: D3D84022 180001FA
	v_accvgpr_read_b32 v35, a251                               // 00000000ACF4: D3D84023 180001FB
	v_mul_f32_e32 v34, s47, v34                                // 00000000ACFC: 0A44442F
	v_mul_f32_e32 v35, s47, v35                                // 00000000AD00: 0A46462F
	v_cvt_pk_f16_f32 v197, v34, v35                            // 00000000AD04: D26700C5 00024722
	v_accvgpr_read_b32 v34, a252                               // 00000000AD0C: D3D84022 180001FC
	v_accvgpr_read_b32 v35, a253                               // 00000000AD14: D3D84023 180001FD
	v_mul_f32_e32 v34, s47, v34                                // 00000000AD1C: 0A44442F
	v_mul_f32_e32 v35, s47, v35                                // 00000000AD20: 0A46462F
	v_cvt_pk_f16_f32 v198, v34, v35                            // 00000000AD24: D26700C6 00024722
	v_accvgpr_read_b32 v34, a254                               // 00000000AD2C: D3D84022 180001FE
	v_accvgpr_read_b32 v35, a255                               // 00000000AD34: D3D84023 180001FF
	v_mul_f32_e32 v34, s47, v34                                // 00000000AD3C: 0A44442F
	v_mul_f32_e32 v35, s47, v35                                // 00000000AD40: 0A46462F
	v_cvt_pk_f16_f32 v199, v34, v35                            // 00000000AD44: D26700C7 00024722
	ds_write_b64 v25, v[176:177] offset:52224                  // 00000000AD4C: D89ACC00 0000B019
	ds_write_b64 v25, v[178:179] offset:52800                  // 00000000AD54: D89ACE40 0000B219
	ds_write_b64 v25, v[180:181] offset:53376                  // 00000000AD5C: D89AD080 0000B419
	ds_write_b64 v25, v[182:183] offset:53952                  // 00000000AD64: D89AD2C0 0000B619
	ds_write_b64 v25, v[184:185] offset:54528                  // 00000000AD6C: D89AD500 0000B819
	ds_write_b64 v25, v[186:187] offset:55104                  // 00000000AD74: D89AD740 0000BA19
	ds_write_b64 v25, v[188:189] offset:55680                  // 00000000AD7C: D89AD980 0000BC19
	ds_write_b64 v25, v[190:191] offset:56256                  // 00000000AD84: D89ADBC0 0000BE19
	ds_write_b64 v25, v[192:193] offset:56832                  // 00000000AD8C: D89ADE00 0000C019
	ds_write_b64 v25, v[194:195] offset:57408                  // 00000000AD94: D89AE040 0000C219
	ds_write_b64 v25, v[196:197] offset:57984                  // 00000000AD9C: D89AE280 0000C419
	ds_write_b64 v25, v[198:199] offset:58560                  // 00000000ADA4: D89AE4C0 0000C619
	s_waitcnt lgkmcnt(0)                                       // 00000000ADAC: BF8CC07F
	s_barrier                                                  // 00000000ADB0: BF8A0000
	ds_read_b64 v[176:177], v23 offset:52224                   // 00000000ADB4: D8ECCC00 B0000017
	ds_read_b64 v[178:179], v23 offset:52352                   // 00000000ADBC: D8ECCC80 B2000017
	ds_read_b64 v[180:181], v23 offset:54528                   // 00000000ADC4: D8ECD500 B4000017
	ds_read_b64 v[182:183], v23 offset:54656                   // 00000000ADCC: D8ECD580 B6000017
	ds_read_b64 v[184:185], v23 offset:56832                   // 00000000ADD4: D8ECDE00 B8000017
	ds_read_b64 v[186:187], v23 offset:56960                   // 00000000ADDC: D8ECDE80 BA000017
	ds_read_b64 v[188:189], v23 offset:52288                   // 00000000ADE4: D8ECCC40 BC000017
	ds_read_b64 v[190:191], v23 offset:52416                   // 00000000ADEC: D8ECCCC0 BE000017
	ds_read_b64 v[192:193], v23 offset:54592                   // 00000000ADF4: D8ECD540 C0000017
	ds_read_b64 v[194:195], v23 offset:54720                   // 00000000ADFC: D8ECD5C0 C2000017
	ds_read_b64 v[196:197], v23 offset:56896                   // 00000000AE04: D8ECDE40 C4000017
	ds_read_b64 v[198:199], v23 offset:57024                   // 00000000AE0C: D8ECDEC0 C6000017
	s_waitcnt lgkmcnt(0)                                       // 00000000AE14: BF8CC07F
	s_mov_b32 s70, s52                                         // 00000000AE18: BEC60034
	buffer_store_dwordx4 v[176:179], v5, s[36:39], 0 offen     // 00000000AE1C: E07C1000 8009B005
	buffer_store_dwordx4 v[180:183], v5, s[36:39], 0 offen offset:128// 00000000AE24: E07C1080 8009B405
	buffer_store_dwordx4 v[184:187], v5, s[36:39], 0 offen offset:256// 00000000AE2C: E07C1100 8009B805
	s_mul_i32 s60, 8, s70                                      // 00000000AE34: 923C4688
	v_add_u32_e32 v5, s60, v5                                  // 00000000AE38: 680A0A3C
	buffer_store_dwordx4 v[188:191], v5, s[36:39], 0 offen     // 00000000AE3C: E07C1000 8009BC05
	buffer_store_dwordx4 v[192:195], v5, s[36:39], 0 offen offset:128// 00000000AE44: E07C1080 8009C005
	buffer_store_dwordx4 v[196:199], v5, s[36:39], 0 offen offset:256// 00000000AE4C: E07C1100 8009C405
	s_mul_i32 s60, 8, s70                                      // 00000000AE54: 923C4688
	v_add_u32_e32 v5, s60, v5                                  // 00000000AE58: 680A0A3C

000000000000ae5c <label_1BB5>:
	s_waitcnt vmcnt(0) expcnt(0) lgkmcnt(0)                    // 00000000AE5C: BF8C0000
	s_sub_i32 s60, s77, 1                                      // 00000000AE60: 81BC814D
	s_sub_i32 s2, s60, s2                                      // 00000000AE64: 8182023C
	s_addk_i32 s75, 0x1                                        // 00000000AE68: B74B0001
	s_cmp_lt_i32 s75, s76                                      // 00000000AE6C: BF044C4B
	s_cbranch_scc1 label_0150                                  // 00000000AE70: BF85E5B3
	s_waitcnt vmcnt(0) expcnt(0) lgkmcnt(0)                    // 00000000AE74: BF8C0000
	s_endpgm                                                   // 00000000AE78: BF810000
